;; amdgpu-corpus repo=ROCm/rocFFT kind=compiled arch=gfx906 opt=O3
	.text
	.amdgcn_target "amdgcn-amd-amdhsa--gfx906"
	.amdhsa_code_object_version 6
	.protected	bluestein_single_back_len432_dim1_sp_op_CI_CI ; -- Begin function bluestein_single_back_len432_dim1_sp_op_CI_CI
	.globl	bluestein_single_back_len432_dim1_sp_op_CI_CI
	.p2align	8
	.type	bluestein_single_back_len432_dim1_sp_op_CI_CI,@function
bluestein_single_back_len432_dim1_sp_op_CI_CI: ; @bluestein_single_back_len432_dim1_sp_op_CI_CI
; %bb.0:
	s_load_dwordx4 s[12:15], s[4:5], 0x28
	v_mul_u32_u24_e32 v1, 0x97c, v0
	v_lshrrev_b32_e32 v2, 16, v1
	v_lshl_add_u32 v138, s6, 1, v2
	v_mov_b32_e32 v139, 0
	s_waitcnt lgkmcnt(0)
	v_cmp_gt_u64_e32 vcc, s[12:13], v[138:139]
	s_and_saveexec_b64 s[0:1], vcc
	s_cbranch_execz .LBB0_31
; %bb.1:
	s_load_dwordx4 s[0:3], s[4:5], 0x18
	s_load_dwordx2 s[12:13], s[4:5], 0x0
	v_mul_lo_u16_e32 v1, 27, v2
	v_sub_u16_e32 v151, v0, v1
	v_or_b32_e32 v150, 0x120, v151
	s_waitcnt lgkmcnt(0)
	s_load_dwordx4 s[8:11], s[0:1], 0x0
	v_lshlrev_b32_e32 v160, 3, v151
	v_mov_b32_e32 v33, 0x1b0
	s_waitcnt lgkmcnt(0)
	v_mad_u64_u32 v[0:1], s[0:1], s10, v138, 0
	v_mad_u64_u32 v[3:4], s[0:1], s8, v151, 0
	;; [unrolled: 1-line block ×3, first 2 shown]
	v_and_b32_e32 v2, 1, v2
	v_mad_u64_u32 v[6:7], s[0:1], s9, v151, v[4:5]
	v_mov_b32_e32 v1, v5
	v_lshlrev_b64 v[0:1], 3, v[0:1]
	v_mov_b32_e32 v7, s15
	v_mov_b32_e32 v4, v6
	v_add_co_u32_e32 v9, vcc, s14, v0
	v_addc_co_u32_e32 v10, vcc, v7, v1, vcc
	v_lshlrev_b64 v[0:1], 3, v[3:4]
	v_mad_u64_u32 v[3:4], s[6:7], s8, v150, 0
	s_mul_i32 s0, s9, 0x90
	s_mul_hi_u32 s1, s8, 0x90
	v_add_co_u32_e32 v0, vcc, v9, v0
	s_add_i32 s1, s1, s0
	s_mul_i32 s0, s8, 0x90
	v_addc_co_u32_e32 v1, vcc, v10, v1, vcc
	s_lshl_b64 s[14:15], s[0:1], 3
	v_mad_u64_u32 v[4:5], s[0:1], s9, v150, v[4:5]
	v_mov_b32_e32 v31, s15
	v_add_co_u32_e32 v5, vcc, s14, v0
	v_addc_co_u32_e32 v6, vcc, v1, v31, vcc
	v_mov_b32_e32 v7, 0xfffffc58
	v_mad_u64_u32 v[7:8], s[0:1], s8, v7, v[5:6]
	v_lshlrev_b64 v[3:4], 3, v[3:4]
	s_mul_i32 s0, s9, 0xfffffc58
	v_add_co_u32_e32 v3, vcc, v9, v3
	s_sub_i32 s0, s0, s8
	v_addc_co_u32_e32 v4, vcc, v10, v4, vcc
	v_add_u32_e32 v8, s0, v8
	global_load_dwordx2 v[9:10], v[7:8], off
	global_load_dwordx2 v[145:146], v160, s[12:13]
	global_load_dwordx2 v[139:140], v160, s[12:13] offset:216
	v_add_co_u32_e32 v7, vcc, s14, v7
	s_mul_hi_u32 s1, s8, 0xfffffefb
	v_addc_co_u32_e32 v8, vcc, v8, v31, vcc
	s_mul_i32 s0, s9, 0xfffffefb
	s_sub_i32 s1, s1, s8
	global_load_dwordx2 v[11:12], v[0:1], off
	global_load_dwordx2 v[13:14], v[5:6], off
	global_load_dwordx2 v[15:16], v[3:4], off
	global_load_dwordx2 v[17:18], v[7:8], off
	global_load_dwordx2 v[143:144], v160, s[12:13] offset:1152
	global_load_dwordx2 v[136:137], v160, s[12:13] offset:1368
	v_add_co_u32_e32 v0, vcc, s14, v7
	s_add_i32 s1, s1, s0
	s_mul_i32 s0, s8, 0xfffffefb
	v_addc_co_u32_e32 v1, vcc, v8, v31, vcc
	s_lshl_b64 s[16:17], s[0:1], 3
	global_load_dwordx2 v[3:4], v[0:1], off
	global_load_dwordx2 v[141:142], v160, s[12:13] offset:2304
	global_load_dwordx2 v[134:135], v160, s[12:13] offset:2520
	v_mov_b32_e32 v27, s17
	v_add_co_u32_e32 v0, vcc, s16, v0
	v_addc_co_u32_e32 v1, vcc, v1, v27, vcc
	global_load_dwordx2 v[5:6], v[0:1], off
	global_load_dwordx2 v[132:133], v160, s[12:13] offset:432
	v_add_co_u32_e32 v0, vcc, s14, v0
	v_addc_co_u32_e32 v1, vcc, v1, v31, vcc
	global_load_dwordx2 v[7:8], v[0:1], off
	global_load_dwordx2 v[130:131], v160, s[12:13] offset:1584
	;; [unrolled: 4-line block ×9, first 2 shown]
	v_cmp_eq_u32_e32 vcc, 1, v2
	v_cndmask_b32_e32 v166, 0, v33, vcc
	v_mov_b32_e32 v2, s13
	v_add_co_u32_e32 v114, vcc, s12, v160
	v_addc_co_u32_e32 v115, vcc, 0, v2, vcc
	v_lshlrev_b32_e32 v152, 3, v166
	v_add_u32_e32 v149, v152, v160
	s_load_dwordx2 s[6:7], s[4:5], 0x38
	s_load_dwordx4 s[8:11], s[2:3], 0x0
	v_cmp_gt_u16_e64 s[0:1], 9, v151
	s_waitcnt vmcnt(26)
	v_mul_f32_e32 v33, v12, v146
	v_mul_f32_e32 v2, v11, v146
	v_fmac_f32_e32 v33, v11, v145
	v_fma_f32 v34, v12, v145, -v2
	s_waitcnt vmcnt(22)
	v_mul_f32_e32 v11, v14, v144
	v_mul_f32_e32 v2, v13, v144
	v_fmac_f32_e32 v11, v13, v143
	v_fma_f32 v12, v14, v143, -v2
	ds_write_b64 v149, v[11:12] offset:1152
	s_waitcnt vmcnt(19)
	v_mul_f32_e32 v11, v16, v142
	v_mul_f32_e32 v2, v15, v142
	v_fmac_f32_e32 v11, v15, v141
	v_fma_f32 v12, v16, v141, -v2
	v_mul_f32_e32 v2, v9, v140
	ds_write_b64 v149, v[11:12] offset:2304
	v_fma_f32 v12, v10, v139, -v2
	v_mul_f32_e32 v2, v17, v137
	v_mul_f32_e32 v11, v10, v140
	v_fma_f32 v10, v18, v136, -v2
	s_waitcnt vmcnt(18)
	v_mul_f32_e32 v2, v4, v135
	v_fmac_f32_e32 v11, v9, v139
	v_fmac_f32_e32 v2, v3, v134
	v_mul_f32_e32 v3, v3, v135
	ds_write2_b64 v149, v[33:34], v[11:12] offset1:27
	v_fma_f32 v3, v4, v134, -v3
	s_waitcnt vmcnt(16)
	v_mul_f32_e32 v11, v6, v133
	v_mul_f32_e32 v4, v5, v133
	;; [unrolled: 1-line block ×3, first 2 shown]
	v_fmac_f32_e32 v11, v5, v132
	v_fma_f32 v12, v6, v132, -v4
	s_waitcnt vmcnt(14)
	v_mul_f32_e32 v4, v8, v131
	v_mul_f32_e32 v5, v7, v131
	v_fmac_f32_e32 v9, v17, v136
	v_fmac_f32_e32 v4, v7, v130
	v_fma_f32 v5, v8, v130, -v5
	ds_write2_b64 v149, v[9:10], v[4:5] offset0:171 offset1:198
	s_waitcnt vmcnt(12)
	v_mul_f32_e32 v5, v20, v129
	v_mul_f32_e32 v4, v19, v129
	v_fmac_f32_e32 v5, v19, v128
	v_fma_f32 v6, v20, v128, -v4
	v_add_u32_e32 v4, 0x800, v149
	ds_write2_b64 v4, v[2:3], v[5:6] offset0:59 offset1:86
	s_waitcnt vmcnt(10)
	v_mul_f32_e32 v2, v22, v127
	v_mul_f32_e32 v3, v21, v127
	v_fmac_f32_e32 v2, v21, v126
	v_fma_f32 v3, v22, v126, -v3
	s_waitcnt vmcnt(4)
	v_mul_f32_e32 v7, v28, v121
	v_mul_f32_e32 v8, v27, v121
	v_fmac_f32_e32 v7, v27, v120
	v_fma_f32 v8, v28, v120, -v8
	ds_write2_b64 v149, v[11:12], v[2:3] offset0:54 offset1:81
	v_mul_f32_e32 v2, v24, v125
	v_mul_f32_e32 v3, v23, v125
	ds_write_b64 v149, v[7:8] offset:864
	s_waitcnt vmcnt(2)
	v_mul_f32_e32 v7, v30, v119
	v_mul_f32_e32 v8, v29, v119
	v_fmac_f32_e32 v2, v23, v124
	v_fma_f32 v3, v24, v124, -v3
	v_fmac_f32_e32 v7, v29, v118
	v_fma_f32 v8, v30, v118, -v8
	v_mul_f32_e32 v5, v26, v123
	v_mul_f32_e32 v6, v25, v123
	ds_write2_b64 v149, v[2:3], v[7:8] offset0:225 offset1:252
	s_waitcnt vmcnt(0)
	v_mul_f32_e32 v2, v32, v117
	v_mul_f32_e32 v3, v31, v117
	v_fmac_f32_e32 v5, v25, v122
	v_fma_f32 v6, v26, v122, -v6
	v_fmac_f32_e32 v2, v31, v116
	v_fma_f32 v3, v32, v116, -v3
	ds_write2_b64 v4, v[5:6], v[2:3] offset0:113 offset1:140
	s_and_saveexec_b64 s[2:3], s[0:1]
	s_cbranch_execz .LBB0_3
; %bb.2:
	v_mov_b32_e32 v2, s17
	v_add_co_u32_e32 v0, vcc, s16, v0
	v_addc_co_u32_e32 v1, vcc, v1, v2, vcc
	global_load_dwordx2 v[2:3], v[0:1], off
	v_mov_b32_e32 v11, s15
	v_add_co_u32_e32 v0, vcc, s14, v0
	v_addc_co_u32_e32 v1, vcc, v1, v11, vcc
	global_load_dwordx2 v[5:6], v[114:115], off offset:1080
	global_load_dwordx2 v[7:8], v[0:1], off
	global_load_dwordx2 v[9:10], v[114:115], off offset:2232
	v_add_co_u32_e32 v0, vcc, s14, v0
	v_addc_co_u32_e32 v1, vcc, v1, v11, vcc
	global_load_dwordx2 v[11:12], v[114:115], off offset:3384
	global_load_dwordx2 v[13:14], v[0:1], off
	v_add_u32_e32 v15, 0x400, v149
	s_waitcnt vmcnt(4)
	v_mul_f32_e32 v0, v3, v6
	v_mul_f32_e32 v1, v2, v6
	v_fmac_f32_e32 v0, v2, v5
	v_fma_f32 v1, v3, v5, -v1
	s_waitcnt vmcnt(2)
	v_mul_f32_e32 v2, v8, v10
	v_mul_f32_e32 v3, v7, v10
	v_fmac_f32_e32 v2, v7, v9
	s_waitcnt vmcnt(0)
	v_mul_f32_e32 v5, v14, v12
	v_mul_f32_e32 v6, v13, v12
	v_fma_f32 v3, v8, v9, -v3
	v_fmac_f32_e32 v5, v13, v11
	v_fma_f32 v6, v14, v11, -v6
	ds_write2_b64 v15, v[0:1], v[2:3] offset0:7 offset1:151
	ds_write_b64 v149, v[5:6] offset:3384
.LBB0_3:
	s_or_b64 exec, exec, s[2:3]
	s_waitcnt lgkmcnt(0)
	; wave barrier
	s_waitcnt lgkmcnt(0)
	ds_read2_b64 v[12:15], v149 offset1:27
	ds_read2_b64 v[0:3], v149 offset0:108 offset1:144
	ds_read2_b64 v[28:31], v4 offset0:32 offset1:59
	;; [unrolled: 1-line block ×6, first 2 shown]
	ds_read_b64 v[34:35], v149 offset:3168
	s_load_dwordx2 s[2:3], s[4:5], 0x8
                                        ; implicit-def: $vgpr4
                                        ; implicit-def: $vgpr32
	s_and_saveexec_b64 s[4:5], s[0:1]
	s_cbranch_execz .LBB0_5
; %bb.4:
	v_add_u32_e32 v4, 0x400, v149
	ds_read2_b64 v[4:7], v4 offset0:7 offset1:151
	ds_read_b64 v[32:33], v149 offset:3384
.LBB0_5:
	s_or_b64 exec, exec, s[4:5]
	s_waitcnt lgkmcnt(0)
	v_add_f32_e32 v38, v2, v28
	v_add_f32_e32 v37, v12, v2
	v_fma_f32 v12, -0.5, v38, v12
	v_sub_f32_e32 v38, v3, v29
	v_mov_b32_e32 v39, v12
	v_fmac_f32_e32 v39, 0x3f5db3d7, v38
	v_fmac_f32_e32 v12, 0xbf5db3d7, v38
	v_add_f32_e32 v38, v13, v3
	v_add_f32_e32 v3, v3, v29
	v_fma_f32 v13, -0.5, v3, v13
	v_sub_f32_e32 v2, v2, v28
	v_mov_b32_e32 v40, v13
	v_add_f32_e32 v3, v24, v30
	v_fmac_f32_e32 v40, 0xbf5db3d7, v2
	v_fmac_f32_e32 v13, 0x3f5db3d7, v2
	v_add_f32_e32 v2, v14, v24
	v_fma_f32 v14, -0.5, v3, v14
	v_add_f32_e32 v37, v37, v28
	v_sub_f32_e32 v3, v25, v31
	v_mov_b32_e32 v28, v14
	v_fmac_f32_e32 v28, 0x3f5db3d7, v3
	v_fmac_f32_e32 v14, 0xbf5db3d7, v3
	v_add_f32_e32 v3, v15, v25
	v_add_f32_e32 v25, v25, v31
	v_fmac_f32_e32 v15, -0.5, v25
	v_add_f32_e32 v38, v38, v29
	v_sub_f32_e32 v24, v24, v30
	v_mov_b32_e32 v29, v15
	v_add_f32_e32 v25, v26, v20
	v_fmac_f32_e32 v29, 0xbf5db3d7, v24
	v_fmac_f32_e32 v15, 0x3f5db3d7, v24
	v_add_f32_e32 v24, v8, v26
	v_fma_f32 v8, -0.5, v25, v8
	v_add_f32_e32 v2, v2, v30
	v_sub_f32_e32 v25, v27, v21
	v_mov_b32_e32 v30, v8
	v_fmac_f32_e32 v30, 0x3f5db3d7, v25
	v_fmac_f32_e32 v8, 0xbf5db3d7, v25
	v_add_f32_e32 v25, v9, v27
	v_add_f32_e32 v25, v25, v21
	;; [unrolled: 1-line block ×3, first 2 shown]
	v_fma_f32 v9, -0.5, v21, v9
	v_add_f32_e32 v3, v3, v31
	v_add_f32_e32 v24, v24, v20
	v_sub_f32_e32 v20, v26, v20
	v_mov_b32_e32 v31, v9
	v_add_f32_e32 v21, v16, v22
	v_fmac_f32_e32 v31, 0xbf5db3d7, v20
	v_fmac_f32_e32 v9, 0x3f5db3d7, v20
	v_add_f32_e32 v20, v10, v16
	v_fma_f32 v10, -0.5, v21, v10
	v_sub_f32_e32 v21, v17, v23
	v_mov_b32_e32 v26, v10
	v_fmac_f32_e32 v26, 0x3f5db3d7, v21
	v_fmac_f32_e32 v10, 0xbf5db3d7, v21
	v_add_f32_e32 v21, v11, v17
	v_add_f32_e32 v17, v17, v23
	v_fmac_f32_e32 v11, -0.5, v17
	v_sub_f32_e32 v16, v16, v22
	v_mov_b32_e32 v27, v11
	v_add_f32_e32 v17, v18, v34
	v_fmac_f32_e32 v27, 0xbf5db3d7, v16
	v_fmac_f32_e32 v11, 0x3f5db3d7, v16
	v_add_f32_e32 v16, v0, v18
	v_fma_f32 v0, -0.5, v17, v0
	v_add_f32_e32 v20, v20, v22
	v_sub_f32_e32 v17, v19, v35
	v_mov_b32_e32 v22, v0
	v_fmac_f32_e32 v22, 0x3f5db3d7, v17
	v_fmac_f32_e32 v0, 0xbf5db3d7, v17
	v_add_f32_e32 v17, v1, v19
	v_add_f32_e32 v19, v19, v35
	v_fmac_f32_e32 v1, -0.5, v19
	v_add_f32_e32 v21, v21, v23
	v_sub_f32_e32 v18, v18, v34
	v_mov_b32_e32 v23, v1
	v_fmac_f32_e32 v23, 0xbf5db3d7, v18
	v_fmac_f32_e32 v1, 0x3f5db3d7, v18
	v_add_f32_e32 v18, v6, v32
	v_fma_f32 v84, -0.5, v18, v4
	v_sub_f32_e32 v18, v7, v33
	v_mov_b32_e32 v78, v84
	v_fmac_f32_e32 v78, 0x3f5db3d7, v18
	v_fmac_f32_e32 v84, 0xbf5db3d7, v18
	v_add_f32_e32 v18, v7, v33
	v_fma_f32 v85, -0.5, v18, v5
	v_sub_f32_e32 v18, v6, v32
	v_mov_b32_e32 v79, v85
	v_fmac_f32_e32 v79, 0xbf5db3d7, v18
	v_fmac_f32_e32 v85, 0x3f5db3d7, v18
	v_mul_lo_u16_e32 v18, 3, v151
	v_add_co_u32_e32 v172, vcc, 27, v151
	v_lshl_add_u32 v153, v18, 3, v152
	s_waitcnt lgkmcnt(0)
	; wave barrier
	ds_write2_b64 v153, v[37:38], v[39:40] offset1:1
	ds_write_b64 v153, v[12:13] offset:16
	v_mul_u32_u24_e32 v12, 3, v172
	v_addc_co_u32_e64 v36, s[4:5], 0, 0, vcc
	v_add_co_u32_e32 v171, vcc, 54, v151
	v_lshl_add_u32 v154, v12, 3, v152
	v_add_co_u32_e32 v170, vcc, 0x51, v151
	ds_write2_b64 v154, v[2:3], v[28:29] offset1:1
	ds_write_b64 v154, v[14:15] offset:16
	v_mul_u32_u24_e32 v2, 3, v171
	v_add_co_u32_e32 v169, vcc, 0x6c, v151
	s_movk_i32 s4, 0x87
	v_lshl_add_u32 v155, v2, 3, v152
	v_mul_u32_u24_e32 v2, 3, v170
	v_add_co_u32_e32 v167, vcc, s4, v151
	v_lshl_add_u32 v156, v2, 3, v152
	v_mul_u32_u24_e32 v2, 3, v169
	v_addc_co_u32_e64 v168, s[4:5], 0, 0, vcc
	v_add_f32_e32 v16, v16, v34
	v_add_f32_e32 v17, v17, v35
	v_lshl_add_u32 v158, v2, 3, v152
	v_mul_u32_u24_e32 v157, 3, v167
	ds_write2_b64 v155, v[24:25], v[30:31] offset1:1
	ds_write_b64 v155, v[8:9] offset:16
	ds_write2_b64 v156, v[20:21], v[26:27] offset1:1
	ds_write_b64 v156, v[10:11] offset:16
	;; [unrolled: 2-line block ×3, first 2 shown]
	s_and_saveexec_b64 s[4:5], s[0:1]
	s_cbranch_execz .LBB0_7
; %bb.6:
	v_add_f32_e32 v0, v5, v7
	v_add_f32_e32 v1, v0, v33
	v_add_f32_e32 v0, v4, v6
	v_add_f32_e32 v0, v0, v32
	v_lshl_add_u32 v2, v157, 3, v152
	ds_write2_b64 v2, v[0:1], v[78:79] offset1:1
	ds_write_b64 v2, v[84:85] offset:16
.LBB0_7:
	s_or_b64 exec, exec, s[4:5]
	s_movk_i32 s14, 0xab
	v_mul_lo_u16_sdwa v0, v151, s14 dst_sel:DWORD dst_unused:UNUSED_PAD src0_sel:BYTE_0 src1_sel:DWORD
	v_lshrrev_b16_e32 v59, 9, v0
	v_mul_lo_u16_e32 v0, 3, v59
	v_sub_u16_e32 v0, v151, v0
	v_and_b32_e32 v60, 0xff, v0
	v_mov_b32_e32 v0, s2
	s_movk_i32 s4, 0x78
	v_mov_b32_e32 v1, s3
	v_mad_u64_u32 v[49:50], s[4:5], v60, s4, v[0:1]
	v_add_u32_e32 v72, 0x800, v149
	s_waitcnt lgkmcnt(0)
	; wave barrier
	s_waitcnt lgkmcnt(0)
	ds_read2_b64 v[28:31], v149 offset1:27
	ds_read2_b64 v[8:11], v149 offset0:54 offset1:81
	ds_read2_b64 v[16:19], v149 offset0:108 offset1:135
	;; [unrolled: 1-line block ×7, first 2 shown]
	global_load_dwordx4 v[0:3], v[49:50], off offset:48
	global_load_dwordx4 v[4:7], v[49:50], off offset:32
	;; [unrolled: 1-line block ×3, first 2 shown]
	global_load_dwordx4 v[20:23], v[49:50], off
	v_mul_u32_u24_e32 v59, 48, v59
	v_or_b32_e32 v59, v59, v60
	v_lshl_add_u32 v161, v59, 3, v152
	s_waitcnt vmcnt(3) lgkmcnt(4)
	v_mul_f32_e32 v64, v26, v1
	s_waitcnt vmcnt(2)
	v_mul_f32_e32 v58, v18, v5
	s_waitcnt vmcnt(1)
	;; [unrolled: 2-line block ×3, first 2 shown]
	v_mul_f32_e32 v51, v31, v21
	v_fma_f32 v51, v30, v20, -v51
	v_mul_f32_e32 v30, v30, v21
	v_fmac_f32_e32 v30, v31, v20
	v_mul_f32_e32 v31, v9, v23
	v_fma_f32 v31, v8, v22, -v31
	v_mul_f32_e32 v52, v8, v23
	v_mul_f32_e32 v8, v11, v13
	v_fma_f32 v53, v10, v12, -v8
	v_mul_f32_e32 v8, v17, v15
	v_fma_f32 v55, v16, v14, -v8
	;; [unrolled: 2-line block ×4, first 2 shown]
	v_mul_f32_e32 v8, v27, v1
	v_mul_f32_e32 v56, v16, v15
	;; [unrolled: 1-line block ×3, first 2 shown]
	v_fma_f32 v63, v26, v0, -v8
	s_waitcnt lgkmcnt(3)
	v_mul_f32_e32 v8, v33, v3
	v_fmac_f32_e32 v52, v9, v22
	v_fmac_f32_e32 v54, v11, v12
	;; [unrolled: 1-line block ×6, first 2 shown]
	v_fma_f32 v65, v32, v2, -v8
	global_load_dwordx2 v[147:148], v[49:50], off offset:112
	global_load_dwordx4 v[8:11], v[49:50], off offset:96
	global_load_dwordx4 v[16:19], v[49:50], off offset:80
	;; [unrolled: 1-line block ×3, first 2 shown]
	v_mul_f32_e32 v32, v32, v3
	v_fmac_f32_e32 v32, v33, v2
	v_sub_f32_e32 v32, v29, v32
	v_fma_f32 v29, v29, 2.0, -v32
	s_waitcnt lgkmcnt(0)
	; wave barrier
	s_waitcnt vmcnt(0) lgkmcnt(0)
	v_mul_f32_e32 v33, v35, v25
	v_fma_f32 v33, v34, v24, -v33
	v_mul_f32_e32 v34, v34, v25
	v_fmac_f32_e32 v34, v35, v24
	v_mul_f32_e32 v35, v38, v27
	v_fma_f32 v35, v37, v26, -v35
	v_mul_f32_e32 v37, v37, v27
	v_fmac_f32_e32 v37, v38, v26
	;; [unrolled: 4-line block ×7, first 2 shown]
	v_sub_f32_e32 v48, v28, v65
	v_sub_f32_e32 v41, v56, v41
	;; [unrolled: 1-line block ×3, first 2 shown]
	v_fma_f32 v50, v56, 2.0, -v41
	v_sub_f32_e32 v35, v31, v35
	v_sub_f32_e32 v45, v62, v45
	;; [unrolled: 1-line block ×3, first 2 shown]
	v_fma_f32 v28, v28, 2.0, -v48
	v_fma_f32 v49, v55, 2.0, -v40
	v_sub_f32_e32 v37, v52, v37
	v_sub_f32_e32 v44, v61, v44
	v_fma_f32 v56, v62, 2.0, -v45
	v_sub_f32_e32 v33, v51, v33
	v_sub_f32_e32 v42, v57, v42
	;; [unrolled: 1-line block ×4, first 2 shown]
	v_add_f32_e32 v40, v32, v40
	v_fma_f32 v48, v48, 2.0, -v41
	v_sub_f32_e32 v45, v35, v45
	v_fma_f32 v31, v31, 2.0, -v35
	v_fma_f32 v52, v52, 2.0, -v37
	;; [unrolled: 1-line block ×3, first 2 shown]
	v_sub_f32_e32 v34, v30, v34
	v_fma_f32 v51, v51, 2.0, -v33
	v_sub_f32_e32 v43, v58, v43
	v_fma_f32 v57, v57, 2.0, -v42
	;; [unrolled: 2-line block ×4, first 2 shown]
	v_fma_f32 v32, v32, 2.0, -v40
	v_add_f32_e32 v44, v37, v44
	v_fma_f32 v35, v35, 2.0, -v45
	v_mov_b32_e32 v65, v48
	v_fma_f32 v30, v30, 2.0, -v34
	v_fma_f32 v58, v58, 2.0, -v43
	;; [unrolled: 1-line block ×4, first 2 shown]
	v_sub_f32_e32 v49, v28, v49
	v_sub_f32_e32 v50, v29, v50
	;; [unrolled: 1-line block ×4, first 2 shown]
	v_fma_f32 v37, v37, 2.0, -v44
	v_sub_f32_e32 v57, v51, v57
	v_sub_f32_e32 v61, v53, v61
	v_fmac_f32_e32 v65, 0xbf3504f3, v35
	v_mov_b32_e32 v66, v32
	v_fma_f32 v28, v28, 2.0, -v49
	v_fma_f32 v31, v31, 2.0, -v55
	;; [unrolled: 1-line block ×3, first 2 shown]
	v_sub_f32_e32 v58, v30, v58
	v_fma_f32 v51, v51, 2.0, -v57
	v_sub_f32_e32 v43, v33, v43
	v_add_f32_e32 v42, v34, v42
	v_sub_f32_e32 v62, v54, v62
	v_fma_f32 v53, v53, 2.0, -v61
	v_fmac_f32_e32 v66, 0xbf3504f3, v37
	v_fmac_f32_e32 v65, 0xbf3504f3, v37
	v_sub_f32_e32 v56, v49, v56
	v_add_f32_e32 v67, v50, v55
	v_fma_f32 v29, v29, 2.0, -v50
	v_fma_f32 v30, v30, 2.0, -v58
	;; [unrolled: 1-line block ×5, first 2 shown]
	v_sub_f32_e32 v47, v38, v47
	v_add_f32_e32 v46, v39, v46
	v_sub_f32_e32 v63, v28, v31
	v_fmac_f32_e32 v66, 0x3f3504f3, v35
	v_fma_f32 v35, v48, 2.0, -v65
	v_fma_f32 v48, v49, 2.0, -v56
	;; [unrolled: 1-line block ×3, first 2 shown]
	v_sub_f32_e32 v50, v51, v53
	v_fma_f32 v38, v38, 2.0, -v47
	v_fma_f32 v39, v39, 2.0, -v46
	;; [unrolled: 1-line block ×3, first 2 shown]
	v_sub_f32_e32 v53, v30, v54
	v_fma_f32 v28, v51, 2.0, -v50
	v_mov_b32_e32 v51, v33
	v_mov_b32_e32 v54, v34
	;; [unrolled: 1-line block ×3, first 2 shown]
	v_fmac_f32_e32 v51, 0xbf3504f3, v38
	v_fmac_f32_e32 v54, 0xbf3504f3, v39
	v_fma_f32 v37, v32, 2.0, -v66
	v_fmac_f32_e32 v69, 0x3f3504f3, v44
	v_fmac_f32_e32 v51, 0xbf3504f3, v39
	;; [unrolled: 1-line block ×3, first 2 shown]
	v_mov_b32_e32 v68, v41
	v_fmac_f32_e32 v69, 0x3f3504f3, v45
	v_fma_f32 v38, v33, 2.0, -v51
	v_fma_f32 v34, v34, 2.0, -v54
	v_sub_f32_e32 v55, v57, v62
	v_add_f32_e32 v61, v58, v61
	v_mov_b32_e32 v32, v35
	v_mov_b32_e32 v33, v37
	v_fmac_f32_e32 v68, 0x3f3504f3, v45
	v_fma_f32 v45, v40, 2.0, -v69
	v_fma_f32 v39, v57, 2.0, -v55
	;; [unrolled: 1-line block ×3, first 2 shown]
	v_mov_b32_e32 v57, v43
	v_mov_b32_e32 v58, v42
	v_fmac_f32_e32 v32, 0xbf6c835e, v38
	v_fmac_f32_e32 v33, 0xbf6c835e, v34
	;; [unrolled: 1-line block ×7, first 2 shown]
	v_mov_b32_e32 v38, v49
	v_fma_f32 v44, v41, 2.0, -v68
	v_fmac_f32_e32 v57, 0xbf3504f3, v46
	v_fmac_f32_e32 v58, 0x3f3504f3, v47
	v_fma_f32 v34, v35, 2.0, -v32
	v_fma_f32 v35, v37, 2.0, -v33
	v_mov_b32_e32 v37, v48
	v_fmac_f32_e32 v38, 0xbf3504f3, v40
	v_fma_f32 v43, v43, 2.0, -v57
	v_fma_f32 v46, v42, 2.0, -v58
	v_fmac_f32_e32 v37, 0xbf3504f3, v39
	v_fmac_f32_e32 v38, 0x3f3504f3, v39
	v_mov_b32_e32 v41, v44
	v_mov_b32_e32 v42, v45
	v_sub_f32_e32 v52, v29, v52
	v_fmac_f32_e32 v37, 0xbf3504f3, v40
	v_fma_f32 v40, v49, 2.0, -v38
	v_fmac_f32_e32 v41, 0xbec3ef15, v43
	v_fmac_f32_e32 v42, 0xbec3ef15, v46
	v_mov_b32_e32 v49, v65
	v_fmac_f32_e32 v41, 0xbf6c835e, v46
	v_fmac_f32_e32 v42, 0x3f6c835e, v43
	v_add_f32_e32 v46, v52, v50
	v_fmac_f32_e32 v49, 0x3ec3ef15, v51
	v_mov_b32_e32 v50, v66
	v_fma_f32 v64, v29, 2.0, -v52
	v_fma_f32 v29, v30, 2.0, -v53
	;; [unrolled: 1-line block ×4, first 2 shown]
	v_sub_f32_e32 v45, v63, v53
	v_fmac_f32_e32 v50, 0x3ec3ef15, v54
	v_fmac_f32_e32 v49, 0xbf6c835e, v54
	v_mov_b32_e32 v53, v56
	v_mov_b32_e32 v54, v67
	;; [unrolled: 1-line block ×4, first 2 shown]
	v_fmac_f32_e32 v53, 0x3f3504f3, v55
	v_fmac_f32_e32 v54, 0x3f3504f3, v61
	;; [unrolled: 1-line block ×4, first 2 shown]
	v_sub_f32_e32 v28, v31, v28
	v_sub_f32_e32 v29, v64, v29
	v_fmac_f32_e32 v53, 0xbf3504f3, v61
	v_fmac_f32_e32 v54, 0x3f3504f3, v55
	;; [unrolled: 1-line block ×4, first 2 shown]
	v_fma_f32 v30, v31, 2.0, -v28
	v_fma_f32 v31, v64, 2.0, -v29
	v_fmac_f32_e32 v50, 0x3f6c835e, v51
	v_fma_f32 v55, v56, 2.0, -v53
	v_fma_f32 v56, v67, 2.0, -v54
	;; [unrolled: 1-line block ×9, first 2 shown]
	ds_write2_b64 v161, v[30:31], v[34:35] offset1:3
	ds_write2_b64 v161, v[39:40], v[43:44] offset0:6 offset1:9
	ds_write2_b64 v161, v[47:48], v[51:52] offset0:12 offset1:15
	;; [unrolled: 1-line block ×7, first 2 shown]
	s_waitcnt lgkmcnt(0)
	; wave barrier
	s_waitcnt lgkmcnt(0)
	ds_read2_b64 v[60:63], v149 offset1:27
	ds_read2_b64 v[28:31], v149 offset0:108 offset1:144
	ds_read2_b64 v[64:67], v72 offset0:32 offset1:59
	;; [unrolled: 1-line block ×6, first 2 shown]
	ds_read_b64 v[86:87], v149 offset:3168
	s_and_saveexec_b64 s[4:5], s[0:1]
	s_cbranch_execz .LBB0_9
; %bb.8:
	v_add_u32_e32 v32, 0x400, v149
	ds_read2_b64 v[76:79], v32 offset0:7 offset1:151
	ds_read_b64 v[84:85], v149 offset:3384
.LBB0_9:
	s_or_b64 exec, exec, s[4:5]
	s_movk_i32 s4, 0xffeb
	v_add_co_u32_e32 v37, vcc, s4, v151
	v_addc_co_u32_e64 v38, s[4:5], 0, -1, vcc
	v_cmp_gt_u16_e32 vcc, 21, v151
	v_cndmask_b32_e32 v89, v38, v36, vcc
	v_cndmask_b32_e32 v88, v37, v172, vcc
	v_lshlrev_b64 v[44:45], 4, v[88:89]
	v_mov_b32_e32 v91, s3
	v_add_co_u32_e32 v44, vcc, s2, v44
	v_lshlrev_b32_e32 v90, 4, v151
	v_addc_co_u32_e32 v45, vcc, v91, v45, vcc
	global_load_dwordx4 v[32:35], v90, s[2:3] offset:360
	global_load_dwordx4 v[48:51], v[44:45], off offset:360
	v_mul_lo_u16_sdwa v44, v169, s14 dst_sel:DWORD dst_unused:UNUSED_PAD src0_sel:BYTE_0 src1_sel:DWORD
	v_lshrrev_b16_e32 v44, 13, v44
	v_mul_lo_u16_e32 v44, 48, v44
	v_sub_u16_e32 v44, v169, v44
	v_add_u32_e32 v89, 6, v151
	v_mul_lo_u16_sdwa v37, v170, s14 dst_sel:DWORD dst_unused:UNUSED_PAD src0_sel:BYTE_0 src1_sel:DWORD
	v_and_b32_e32 v94, 0xff, v44
	v_lshlrev_b32_e32 v36, 4, v89
	v_lshrrev_b16_e32 v92, 13, v37
	v_lshlrev_b32_e32 v44, 4, v94
	global_load_dwordx4 v[40:43], v36, s[2:3] offset:360
	global_load_dwordx4 v[52:55], v44, s[2:3] offset:360
	v_mul_lo_u16_e32 v36, 48, v92
	v_mul_lo_u16_sdwa v45, v167, s14 dst_sel:DWORD dst_unused:UNUSED_PAD src0_sel:BYTE_0 src1_sel:DWORD
	v_sub_u16_e32 v93, v170, v36
	v_mov_b32_e32 v46, 4
	v_lshrrev_b16_e32 v45, 13, v45
	v_lshlrev_b32_sdwa v36, v46, v93 dst_sel:DWORD dst_unused:UNUSED_PAD src0_sel:DWORD src1_sel:BYTE_0
	v_mul_lo_u16_e32 v44, 48, v45
	global_load_dwordx4 v[36:39], v36, s[2:3] offset:360
	v_sub_u16_e32 v159, v167, v44
	v_lshlrev_b32_sdwa v44, v46, v159 dst_sel:DWORD dst_unused:UNUSED_PAD src0_sel:DWORD src1_sel:BYTE_0
	global_load_dwordx4 v[44:47], v44, s[2:3] offset:360
	v_add_co_u32_e32 v110, vcc, s2, v90
	v_addc_co_u32_e32 v111, vcc, 0, v91, vcc
	s_waitcnt lgkmcnt(0)
	; wave barrier
	s_waitcnt lgkmcnt(0)
	v_cmp_lt_u16_e32 vcc, 20, v151
	v_lshl_add_u32 v164, v94, 3, v152
	v_lshl_add_u32 v165, v89, 3, v152
	s_waitcnt vmcnt(5)
	v_mul_f32_e32 v90, v31, v33
	v_mul_f32_e32 v91, v30, v33
	v_fma_f32 v90, v30, v32, -v90
	v_fmac_f32_e32 v91, v31, v32
	v_mul_f32_e32 v95, v65, v35
	v_fma_f32 v95, v64, v34, -v95
	v_mul_f32_e32 v96, v64, v35
	v_fmac_f32_e32 v96, v65, v34
	s_waitcnt vmcnt(4)
	v_mul_f32_e32 v64, v69, v49
	v_mul_f32_e32 v65, v67, v51
	s_waitcnt vmcnt(3)
	v_mul_f32_e32 v30, v71, v41
	v_mul_f32_e32 v31, v81, v43
	;; [unrolled: 1-line block ×3, first 2 shown]
	v_fma_f32 v99, v70, v40, -v30
	v_fma_f32 v80, v80, v42, -v31
	v_mul_f32_e32 v97, v70, v41
	v_fmac_f32_e32 v98, v81, v42
	v_mul_f32_e32 v70, v68, v49
	v_fmac_f32_e32 v70, v69, v48
	s_waitcnt vmcnt(1)
	v_mul_f32_e32 v30, v73, v37
	v_mul_f32_e32 v31, v83, v39
	v_fma_f32 v101, v72, v36, -v30
	v_fma_f32 v102, v82, v38, -v31
	v_mul_f32_e32 v30, v75, v53
	v_mul_f32_e32 v31, v87, v55
	v_fma_f32 v106, v74, v52, -v30
	v_fma_f32 v107, v86, v54, -v31
	s_waitcnt vmcnt(0)
	v_mul_f32_e32 v30, v85, v47
	v_add_f32_e32 v31, v90, v95
	v_mul_f32_e32 v81, v72, v37
	v_fma_f32 v109, v84, v46, -v30
	v_add_f32_e32 v30, v60, v90
	v_fma_f32 v60, -0.5, v31, v60
	v_fmac_f32_e32 v81, v73, v36
	v_fma_f32 v73, v68, v48, -v64
	v_fma_f32 v69, v66, v50, -v65
	v_sub_f32_e32 v31, v91, v96
	v_mov_b32_e32 v64, v60
	v_add_f32_e32 v65, v91, v96
	v_fmac_f32_e32 v97, v71, v40
	v_mul_f32_e32 v71, v66, v51
	v_fmac_f32_e32 v64, 0x3f5db3d7, v31
	v_fmac_f32_e32 v60, 0xbf5db3d7, v31
	v_add_f32_e32 v31, v61, v91
	v_fma_f32 v61, -0.5, v65, v61
	v_fmac_f32_e32 v71, v67, v50
	v_sub_f32_e32 v66, v90, v95
	v_mov_b32_e32 v65, v61
	v_add_f32_e32 v67, v73, v69
	v_fmac_f32_e32 v65, 0xbf5db3d7, v66
	v_fmac_f32_e32 v61, 0x3f5db3d7, v66
	v_add_f32_e32 v66, v62, v73
	v_fma_f32 v62, -0.5, v67, v62
	v_sub_f32_e32 v67, v70, v71
	v_mov_b32_e32 v68, v62
	v_fmac_f32_e32 v68, 0x3f5db3d7, v67
	v_fmac_f32_e32 v62, 0xbf5db3d7, v67
	v_add_f32_e32 v67, v63, v70
	v_add_f32_e32 v70, v70, v71
	v_fmac_f32_e32 v63, -0.5, v70
	v_add_f32_e32 v66, v66, v69
	v_add_f32_e32 v67, v67, v71
	v_sub_f32_e32 v70, v73, v69
	v_mov_b32_e32 v69, v63
	v_add_f32_e32 v71, v99, v80
	v_mul_f32_e32 v72, v79, v45
	v_fmac_f32_e32 v69, 0xbf5db3d7, v70
	v_fmac_f32_e32 v63, 0x3f5db3d7, v70
	v_add_f32_e32 v70, v56, v99
	v_fma_f32 v56, -0.5, v71, v56
	v_fma_f32 v108, v78, v44, -v72
	v_sub_f32_e32 v71, v97, v98
	v_mov_b32_e32 v72, v56
	v_add_f32_e32 v73, v97, v98
	v_mul_f32_e32 v103, v74, v53
	v_fmac_f32_e32 v72, 0x3f5db3d7, v71
	v_fmac_f32_e32 v56, 0xbf5db3d7, v71
	v_add_f32_e32 v71, v57, v97
	v_fma_f32 v57, -0.5, v73, v57
	v_mul_f32_e32 v100, v82, v39
	v_fmac_f32_e32 v103, v75, v52
	v_sub_f32_e32 v74, v99, v80
	v_mov_b32_e32 v73, v57
	v_add_f32_e32 v75, v101, v102
	v_fmac_f32_e32 v100, v83, v38
	v_fmac_f32_e32 v73, 0xbf5db3d7, v74
	;; [unrolled: 1-line block ×3, first 2 shown]
	v_add_f32_e32 v74, v58, v101
	v_fma_f32 v58, -0.5, v75, v58
	v_mul_f32_e32 v105, v78, v45
	v_sub_f32_e32 v75, v81, v100
	v_mov_b32_e32 v82, v58
	v_add_f32_e32 v78, v81, v100
	v_fmac_f32_e32 v82, 0x3f5db3d7, v75
	v_fmac_f32_e32 v58, 0xbf5db3d7, v75
	v_add_f32_e32 v75, v59, v81
	v_fmac_f32_e32 v59, -0.5, v78
	v_sub_f32_e32 v78, v101, v102
	v_mov_b32_e32 v83, v59
	v_fmac_f32_e32 v83, 0xbf5db3d7, v78
	v_fmac_f32_e32 v59, 0x3f5db3d7, v78
	v_add_f32_e32 v78, v28, v106
	v_mul_f32_e32 v104, v86, v55
	v_mul_f32_e32 v112, v84, v47
	v_add_f32_e32 v84, v78, v107
	v_add_f32_e32 v78, v106, v107
	v_fmac_f32_e32 v104, v87, v54
	v_fma_f32 v28, -0.5, v78, v28
	v_sub_f32_e32 v78, v103, v104
	v_mov_b32_e32 v86, v28
	v_fmac_f32_e32 v86, 0x3f5db3d7, v78
	v_fmac_f32_e32 v28, 0xbf5db3d7, v78
	v_add_f32_e32 v78, v29, v103
	v_fmac_f32_e32 v112, v85, v46
	v_add_f32_e32 v85, v78, v104
	v_add_f32_e32 v78, v103, v104
	;; [unrolled: 1-line block ×4, first 2 shown]
	v_fmac_f32_e32 v29, -0.5, v78
	v_fmac_f32_e32 v105, v79, v44
	v_sub_f32_e32 v78, v106, v107
	v_mov_b32_e32 v87, v29
	v_add_f32_e32 v79, v108, v109
	ds_write2_b64 v149, v[30:31], v[64:65] offset1:48
	ds_write_b64 v149, v[60:61] offset:768
	v_mov_b32_e32 v30, 0x90
	v_fmac_f32_e32 v87, 0xbf5db3d7, v78
	v_fmac_f32_e32 v29, 0x3f5db3d7, v78
	v_add_f32_e32 v78, v76, v108
	v_fmac_f32_e32 v76, -0.5, v79
	v_cndmask_b32_e32 v30, 0, v30, vcc
	v_add_f32_e32 v70, v70, v80
	v_sub_f32_e32 v79, v105, v112
	v_mov_b32_e32 v80, v76
	v_add_f32_e32 v81, v105, v112
	v_add_u32_e32 v30, v88, v30
	v_fmac_f32_e32 v80, 0x3f5db3d7, v79
	v_fmac_f32_e32 v76, 0xbf5db3d7, v79
	v_add_f32_e32 v79, v77, v105
	v_fmac_f32_e32 v77, -0.5, v81
	v_lshl_add_u32 v162, v30, 3, v152
	v_mul_u32_u24_e32 v30, 0x90, v92
	v_sub_f32_e32 v90, v108, v109
	v_mov_b32_e32 v81, v77
	v_add_u32_sdwa v30, v30, v93 dst_sel:DWORD dst_unused:UNUSED_PAD src0_sel:DWORD src1_sel:BYTE_0
	v_add_f32_e32 v74, v74, v102
	v_add_f32_e32 v75, v75, v100
	;; [unrolled: 1-line block ×4, first 2 shown]
	v_fmac_f32_e32 v81, 0xbf5db3d7, v90
	v_fmac_f32_e32 v77, 0x3f5db3d7, v90
	v_lshl_add_u32 v163, v30, 3, v152
	v_add_u32_e32 v30, 0x800, v164
	v_add_f32_e32 v71, v71, v98
	ds_write2_b64 v162, v[66:67], v[68:69] offset1:48
	ds_write_b64 v162, v[62:63] offset:768
	ds_write_b64 v149, v[70:71] offset:1200
	;; [unrolled: 1-line block ×4, first 2 shown]
	ds_write2_b64 v163, v[74:75], v[82:83] offset1:48
	ds_write_b64 v163, v[58:59] offset:768
	ds_write2_b64 v30, v[84:85], v[86:87] offset0:32 offset1:80
	ds_write_b64 v164, v[28:29] offset:3072
	s_and_saveexec_b64 s[4:5], s[0:1]
	s_cbranch_execz .LBB0_11
; %bb.10:
	v_and_b32_e32 v28, 0xff, v159
	v_lshl_add_u32 v28, v28, 3, v152
	v_add_u32_e32 v29, 0x800, v28
	ds_write2_b64 v29, v[78:79], v[80:81] offset0:32 offset1:80
	ds_write_b64 v28, v[76:77] offset:3072
.LBB0_11:
	s_or_b64 exec, exec, s[4:5]
	v_add_u32_e32 v173, 0x800, v149
	s_waitcnt lgkmcnt(0)
	; wave barrier
	s_waitcnt lgkmcnt(0)
	ds_read2_b64 v[90:93], v149 offset1:27
	ds_read2_b64 v[86:89], v149 offset0:108 offset1:144
	ds_read2_b64 v[82:85], v173 offset0:32 offset1:59
	;; [unrolled: 1-line block ×6, first 2 shown]
	ds_read_b64 v[112:113], v149 offset:3168
	s_and_saveexec_b64 s[4:5], s[0:1]
	s_cbranch_execz .LBB0_13
; %bb.12:
	v_add_u32_e32 v28, 0x400, v149
	ds_read2_b64 v[78:81], v28 offset0:7 offset1:151
	ds_read_b64 v[76:77], v149 offset:3384
.LBB0_13:
	s_or_b64 exec, exec, s[4:5]
	v_lshlrev_b32_e32 v28, 4, v172
	global_load_dwordx4 v[56:59], v[110:111], off offset:1128
	global_load_dwordx4 v[60:63], v28, s[2:3] offset:1128
	v_lshlrev_b32_e32 v28, 4, v171
	global_load_dwordx4 v[64:67], v28, s[2:3] offset:1128
	v_lshlrev_b32_e32 v28, 4, v170
	;; [unrolled: 2-line block ×3, first 2 shown]
	global_load_dwordx4 v[72:75], v28, s[2:3] offset:1128
	v_add_co_u32_e32 v28, vcc, -9, v151
	v_addc_co_u32_e64 v29, s[4:5], 0, -1, vcc
	v_cndmask_b32_e64 v29, v29, v168, s[0:1]
	v_cndmask_b32_e64 v28, v28, v167, s[0:1]
	v_lshlrev_b64 v[28:29], 4, v[28:29]
	v_mov_b32_e32 v30, s3
	v_add_co_u32_e32 v28, vcc, s2, v28
	v_addc_co_u32_e32 v29, vcc, v30, v29, vcc
	global_load_dwordx4 v[28:31], v[28:29], off offset:1128
	v_lshl_add_u32 v160, v166, 3, v160
	s_waitcnt vmcnt(5) lgkmcnt(6)
	v_mul_f32_e32 v110, v89, v57
	v_mul_f32_e32 v111, v88, v57
	s_waitcnt lgkmcnt(5)
	v_mul_f32_e32 v166, v83, v59
	v_mul_f32_e32 v167, v82, v59
	v_fma_f32 v88, v88, v56, -v110
	v_fmac_f32_e32 v111, v89, v56
	s_waitcnt vmcnt(4) lgkmcnt(4)
	v_mul_f32_e32 v110, v98, v61
	v_mul_f32_e32 v89, v85, v63
	v_fma_f32 v82, v82, v58, -v166
	v_fmac_f32_e32 v167, v83, v58
	v_mul_f32_e32 v83, v99, v61
	v_mul_f32_e32 v166, v84, v63
	s_waitcnt vmcnt(3)
	v_mul_f32_e32 v168, v101, v65
	v_mul_f32_e32 v169, v100, v65
	s_waitcnt lgkmcnt(2)
	v_mul_f32_e32 v170, v103, v67
	v_fmac_f32_e32 v110, v99, v60
	v_fma_f32 v84, v84, v62, -v89
	v_add_f32_e32 v89, v90, v88
	v_add_f32_e32 v99, v91, v111
	v_mul_f32_e32 v171, v102, v67
	v_fma_f32 v83, v98, v60, -v83
	v_fmac_f32_e32 v166, v85, v62
	v_fma_f32 v85, v100, v64, -v168
	v_fmac_f32_e32 v169, v101, v64
	v_fma_f32 v168, v102, v66, -v170
	v_add_f32_e32 v98, v88, v82
	v_sub_f32_e32 v100, v111, v167
	v_add_f32_e32 v101, v111, v167
	v_sub_f32_e32 v102, v88, v82
	v_add_f32_e32 v88, v89, v82
	v_add_f32_e32 v89, v99, v167
	s_waitcnt vmcnt(0) lgkmcnt(0)
	v_mul_f32_e32 v167, v76, v31
	v_mul_f32_e32 v172, v107, v69
	;; [unrolled: 1-line block ×4, first 2 shown]
	v_fma_f32 v91, -0.5, v101, v91
	v_mul_f32_e32 v101, v77, v31
	v_fmac_f32_e32 v167, v77, v30
	v_add_f32_e32 v77, v83, v84
	v_mul_f32_e32 v174, v106, v69
	v_mul_f32_e32 v175, v105, v71
	;; [unrolled: 1-line block ×3, first 2 shown]
	v_fma_f32 v170, v106, v68, -v172
	v_fma_f32 v172, v108, v72, -v177
	v_fmac_f32_e32 v180, v113, v74
	v_mul_f32_e32 v82, v81, v29
	v_mul_f32_e32 v113, v80, v29
	v_fma_f32 v177, v76, v30, -v101
	v_add_f32_e32 v76, v92, v83
	v_fma_f32 v92, -0.5, v77, v92
	v_fmac_f32_e32 v174, v107, v68
	v_fma_f32 v107, v104, v70, -v175
	v_fma_f32 v175, v80, v28, -v82
	v_fmac_f32_e32 v113, v81, v28
	v_sub_f32_e32 v77, v110, v166
	v_mov_b32_e32 v80, v92
	v_add_f32_e32 v81, v110, v166
	v_fmac_f32_e32 v80, 0x3f5db3d7, v77
	v_fmac_f32_e32 v92, 0xbf5db3d7, v77
	v_add_f32_e32 v77, v93, v110
	v_fmac_f32_e32 v93, -0.5, v81
	v_fma_f32 v90, -0.5, v98, v90
	v_sub_f32_e32 v82, v83, v84
	v_mov_b32_e32 v81, v93
	v_mov_b32_e32 v98, v90
	v_fmac_f32_e32 v81, 0xbf5db3d7, v82
	v_fmac_f32_e32 v93, 0x3f5db3d7, v82
	v_add_f32_e32 v82, v94, v85
	v_fmac_f32_e32 v90, 0xbf5db3d7, v100
	v_fmac_f32_e32 v98, 0x3f5db3d7, v100
	v_add_f32_e32 v100, v82, v168
	v_add_f32_e32 v82, v85, v168
	v_fmac_f32_e32 v171, v103, v66
	v_mov_b32_e32 v99, v91
	v_fma_f32 v94, -0.5, v82, v94
	v_fmac_f32_e32 v91, 0x3f5db3d7, v102
	v_fmac_f32_e32 v99, 0xbf5db3d7, v102
	v_sub_f32_e32 v82, v169, v171
	v_mov_b32_e32 v102, v94
	v_fmac_f32_e32 v102, 0x3f5db3d7, v82
	v_fmac_f32_e32 v94, 0xbf5db3d7, v82
	v_add_f32_e32 v82, v95, v169
	v_add_f32_e32 v101, v82, v171
	;; [unrolled: 1-line block ×3, first 2 shown]
	v_fma_f32 v95, -0.5, v82, v95
	v_sub_f32_e32 v82, v85, v168
	v_mov_b32_e32 v103, v95
	v_fmac_f32_e32 v103, 0xbf5db3d7, v82
	v_fmac_f32_e32 v95, 0x3f5db3d7, v82
	v_add_f32_e32 v82, v96, v170
	v_mul_f32_e32 v176, v104, v71
	v_add_f32_e32 v104, v82, v107
	v_add_f32_e32 v82, v170, v107
	v_fmac_f32_e32 v176, v105, v70
	v_fma_f32 v96, -0.5, v82, v96
	v_sub_f32_e32 v82, v174, v176
	v_mov_b32_e32 v106, v96
	v_fmac_f32_e32 v106, 0x3f5db3d7, v82
	v_fmac_f32_e32 v96, 0xbf5db3d7, v82
	v_add_f32_e32 v82, v97, v174
	v_add_f32_e32 v105, v82, v176
	;; [unrolled: 1-line block ×3, first 2 shown]
	v_fmac_f32_e32 v97, -0.5, v82
	v_sub_f32_e32 v82, v170, v107
	v_mov_b32_e32 v107, v97
	v_fma_f32 v112, v112, v74, -v179
	v_fmac_f32_e32 v107, 0xbf5db3d7, v82
	v_fmac_f32_e32 v97, 0x3f5db3d7, v82
	v_add_f32_e32 v82, v86, v172
	v_mul_f32_e32 v178, v108, v73
	v_add_f32_e32 v108, v82, v112
	v_add_f32_e32 v82, v172, v112
	v_fmac_f32_e32 v178, v109, v72
	v_fma_f32 v86, -0.5, v82, v86
	v_sub_f32_e32 v82, v178, v180
	v_mov_b32_e32 v110, v86
	v_fmac_f32_e32 v110, 0x3f5db3d7, v82
	v_fmac_f32_e32 v86, 0xbf5db3d7, v82
	v_add_f32_e32 v82, v87, v178
	v_add_f32_e32 v109, v82, v180
	;; [unrolled: 1-line block ×3, first 2 shown]
	v_fmac_f32_e32 v87, -0.5, v82
	v_sub_f32_e32 v82, v172, v112
	v_mov_b32_e32 v111, v87
	v_add_f32_e32 v83, v175, v177
	v_fmac_f32_e32 v111, 0xbf5db3d7, v82
	v_fmac_f32_e32 v87, 0x3f5db3d7, v82
	v_add_f32_e32 v82, v78, v175
	v_fmac_f32_e32 v78, -0.5, v83
	v_add_f32_e32 v76, v76, v84
	v_sub_f32_e32 v83, v113, v167
	v_mov_b32_e32 v84, v78
	v_add_f32_e32 v85, v113, v167
	v_fmac_f32_e32 v84, 0x3f5db3d7, v83
	v_fmac_f32_e32 v78, 0xbf5db3d7, v83
	v_add_f32_e32 v83, v79, v113
	v_fmac_f32_e32 v79, -0.5, v85
	v_sub_f32_e32 v112, v175, v177
	v_mov_b32_e32 v85, v79
	v_add_f32_e32 v77, v77, v166
	v_add_f32_e32 v82, v82, v177
	;; [unrolled: 1-line block ×3, first 2 shown]
	v_fmac_f32_e32 v85, 0xbf5db3d7, v112
	v_fmac_f32_e32 v79, 0x3f5db3d7, v112
	ds_write_b64 v149, v[98:99] offset:1152
	ds_write_b64 v149, v[90:91] offset:2304
	ds_write2_b64 v149, v[88:89], v[76:77] offset1:27
	ds_write2_b64 v149, v[80:81], v[102:103] offset0:171 offset1:198
	ds_write2_b64 v173, v[92:93], v[94:95] offset0:59 offset1:86
	;; [unrolled: 1-line block ×3, first 2 shown]
	ds_write_b64 v149, v[106:107] offset:1800
	ds_write_b64 v149, v[96:97] offset:2952
	;; [unrolled: 1-line block ×3, first 2 shown]
	v_add_u32_e32 v76, 0x600, v160
	ds_write2_b64 v76, v[110:111], v[86:87] offset0:60 offset1:204
	s_and_saveexec_b64 s[2:3], s[0:1]
	s_cbranch_execz .LBB0_15
; %bb.14:
	v_add_u32_e32 v76, 0x400, v149
	ds_write2_b64 v76, v[82:83], v[84:85] offset0:7 offset1:151
	ds_write_b64 v149, v[78:79] offset:3384
.LBB0_15:
	s_or_b64 exec, exec, s[2:3]
	s_waitcnt lgkmcnt(0)
	; wave barrier
	s_waitcnt lgkmcnt(0)
	global_load_dwordx2 v[80:81], v[114:115], off offset:3456
	s_add_u32 s2, s12, 0xd80
	s_addc_u32 s3, s13, 0
	v_lshlrev_b32_e32 v76, 3, v151
	global_load_dwordx2 v[166:167], v76, s[2:3] offset:1152
	global_load_dwordx2 v[168:169], v76, s[2:3] offset:2304
	;; [unrolled: 1-line block ×14, first 2 shown]
	ds_read2_b64 v[86:89], v149 offset1:27
	ds_read2_b64 v[90:93], v149 offset0:108 offset1:144
	v_add_u32_e32 v77, 0x800, v149
	ds_read2_b64 v[94:97], v149 offset0:171 offset1:198
	ds_read2_b64 v[98:101], v149 offset0:54 offset1:81
	;; [unrolled: 1-line block ×5, first 2 shown]
	s_waitcnt vmcnt(11) lgkmcnt(6)
	v_mul_f32_e32 v196, v89, v171
	s_waitcnt vmcnt(10) lgkmcnt(4)
	v_mul_f32_e32 v197, v95, v173
	;; [unrolled: 2-line block ×3, first 2 shown]
	s_waitcnt vmcnt(8)
	v_mul_f32_e32 v199, v99, v177
	s_waitcnt vmcnt(7)
	v_mul_f32_e32 v200, v97, v179
	s_waitcnt vmcnt(6) lgkmcnt(0)
	v_mul_f32_e32 v201, v111, v181
	s_waitcnt vmcnt(5)
	v_mul_f32_e32 v202, v101, v183
	v_mul_f32_e32 v194, v87, v81
	;; [unrolled: 1-line block ×3, first 2 shown]
	v_fma_f32 v194, v86, v80, -v194
	v_fmac_f32_e32 v195, v87, v80
	v_mul_f32_e32 v80, v93, v167
	v_mul_f32_e32 v81, v92, v167
	;; [unrolled: 1-line block ×11, first 2 shown]
	s_waitcnt vmcnt(4)
	v_mul_f32_e32 v203, v103, v185
	v_mul_f32_e32 v181, v102, v185
	s_waitcnt vmcnt(3)
	v_mul_f32_e32 v204, v113, v187
	v_mul_f32_e32 v183, v112, v187
	;; [unrolled: 3-line block ×3, first 2 shown]
	v_fma_f32 v80, v92, v166, -v80
	v_fmac_f32_e32 v81, v93, v166
	v_fma_f32 v166, v88, v170, -v196
	v_fmac_f32_e32 v167, v89, v170
	v_fma_f32 v86, v106, v168, -v86
	v_fmac_f32_e32 v87, v107, v168
	v_fma_f32 v168, v94, v172, -v197
	v_fmac_f32_e32 v169, v95, v172
	v_fma_f32 v170, v108, v174, -v198
	v_fmac_f32_e32 v171, v109, v174
	v_fma_f32 v172, v98, v176, -v199
	v_fmac_f32_e32 v173, v99, v176
	v_fma_f32 v174, v96, v178, -v200
	v_fmac_f32_e32 v175, v97, v178
	v_fma_f32 v176, v110, v180, -v201
	v_fmac_f32_e32 v177, v111, v180
	v_fma_f32 v178, v100, v182, -v202
	v_fmac_f32_e32 v179, v101, v182
	v_fma_f32 v180, v102, v184, -v203
	v_fmac_f32_e32 v181, v103, v184
	v_fma_f32 v182, v112, v186, -v204
	v_fmac_f32_e32 v183, v113, v186
	v_fma_f32 v184, v90, v188, -v187
	v_fmac_f32_e32 v185, v91, v188
	ds_write2_b64 v149, v[194:195], v[166:167] offset1:27
	ds_write2_b64 v77, v[86:87], v[170:171] offset0:32 offset1:59
	ds_write2_b64 v149, v[168:169], v[174:175] offset0:171 offset1:198
	;; [unrolled: 1-line block ×5, first 2 shown]
	ds_read_b64 v[80:81], v149 offset:3168
	s_waitcnt vmcnt(1)
	v_mul_f32_e32 v86, v105, v191
	v_mul_f32_e32 v87, v104, v191
	v_fma_f32 v86, v104, v190, -v86
	v_fmac_f32_e32 v87, v105, v190
	ds_write2_b64 v149, v[180:181], v[86:87] offset0:225 offset1:252
	s_waitcnt vmcnt(0) lgkmcnt(1)
	v_mul_f32_e32 v86, v81, v193
	v_mul_f32_e32 v87, v80, v193
	v_fma_f32 v86, v80, v192, -v86
	v_fmac_f32_e32 v87, v81, v192
	ds_write_b64 v149, v[86:87] offset:3168
	s_and_saveexec_b64 s[4:5], s[0:1]
	s_cbranch_execz .LBB0_17
; %bb.16:
	v_mov_b32_e32 v81, s3
	v_add_co_u32_e32 v80, vcc, s2, v76
	v_addc_co_u32_e32 v81, vcc, 0, v81, vcc
	global_load_dwordx2 v[90:91], v[80:81], off offset:1080
	global_load_dwordx2 v[92:93], v[80:81], off offset:2232
	s_nop 0
	global_load_dwordx2 v[80:81], v[80:81], off offset:3384
	v_add_u32_e32 v76, 0x400, v149
	ds_read2_b64 v[86:89], v76 offset0:7 offset1:151
	ds_read_b64 v[94:95], v149 offset:3384
	s_waitcnt vmcnt(2) lgkmcnt(1)
	v_mul_f32_e32 v96, v87, v91
	v_mul_f32_e32 v97, v86, v91
	s_waitcnt vmcnt(1)
	v_mul_f32_e32 v98, v89, v93
	v_mul_f32_e32 v91, v88, v93
	s_waitcnt vmcnt(0) lgkmcnt(0)
	v_mul_f32_e32 v99, v95, v81
	v_mul_f32_e32 v93, v94, v81
	v_fma_f32 v96, v86, v90, -v96
	v_fmac_f32_e32 v97, v87, v90
	v_fma_f32 v90, v88, v92, -v98
	v_fmac_f32_e32 v91, v89, v92
	;; [unrolled: 2-line block ×3, first 2 shown]
	ds_write2_b64 v76, v[96:97], v[90:91] offset0:7 offset1:151
	ds_write_b64 v149, v[92:93] offset:3384
.LBB0_17:
	s_or_b64 exec, exec, s[4:5]
	s_waitcnt lgkmcnt(0)
	; wave barrier
	s_waitcnt lgkmcnt(0)
	ds_read2_b64 v[94:97], v149 offset1:27
	ds_read2_b64 v[86:89], v149 offset0:108 offset1:144
	ds_read2_b64 v[110:113], v77 offset0:32 offset1:59
	;; [unrolled: 1-line block ×6, first 2 shown]
	ds_read_b64 v[76:77], v149 offset:3168
	s_and_saveexec_b64 s[2:3], s[0:1]
	s_cbranch_execz .LBB0_19
; %bb.18:
	v_add_u32_e32 v78, 0x400, v149
	ds_read2_b64 v[82:85], v78 offset0:7 offset1:151
	ds_read_b64 v[78:79], v149 offset:3384
.LBB0_19:
	s_or_b64 exec, exec, s[2:3]
	s_waitcnt lgkmcnt(6)
	v_add_f32_e32 v80, v94, v88
	s_waitcnt lgkmcnt(5)
	v_add_f32_e32 v166, v80, v110
	v_add_f32_e32 v80, v88, v110
	v_fma_f32 v94, -0.5, v80, v94
	v_sub_f32_e32 v80, v89, v111
	v_mov_b32_e32 v168, v94
	v_fmac_f32_e32 v168, 0xbf5db3d7, v80
	v_fmac_f32_e32 v94, 0x3f5db3d7, v80
	v_add_f32_e32 v80, v95, v89
	v_add_f32_e32 v167, v80, v111
	;; [unrolled: 1-line block ×3, first 2 shown]
	v_fma_f32 v95, -0.5, v80, v95
	v_sub_f32_e32 v80, v88, v110
	v_mov_b32_e32 v169, v95
	v_fmac_f32_e32 v169, 0x3f5db3d7, v80
	v_fmac_f32_e32 v95, 0xbf5db3d7, v80
	s_waitcnt lgkmcnt(4)
	v_add_f32_e32 v80, v96, v106
	v_add_f32_e32 v88, v80, v112
	;; [unrolled: 1-line block ×3, first 2 shown]
	v_fma_f32 v96, -0.5, v80, v96
	v_sub_f32_e32 v80, v107, v113
	v_mov_b32_e32 v110, v96
	v_fmac_f32_e32 v110, 0xbf5db3d7, v80
	v_fmac_f32_e32 v96, 0x3f5db3d7, v80
	v_add_f32_e32 v80, v97, v107
	v_add_f32_e32 v89, v80, v113
	;; [unrolled: 1-line block ×3, first 2 shown]
	v_fmac_f32_e32 v97, -0.5, v80
	v_sub_f32_e32 v80, v106, v112
	v_mov_b32_e32 v111, v97
	v_fmac_f32_e32 v111, 0x3f5db3d7, v80
	v_fmac_f32_e32 v97, 0xbf5db3d7, v80
	s_waitcnt lgkmcnt(3)
	v_add_f32_e32 v80, v90, v108
	s_waitcnt lgkmcnt(2)
	v_add_f32_e32 v106, v80, v102
	v_add_f32_e32 v80, v108, v102
	v_fma_f32 v90, -0.5, v80, v90
	v_sub_f32_e32 v80, v109, v103
	v_mov_b32_e32 v112, v90
	v_fmac_f32_e32 v112, 0xbf5db3d7, v80
	v_fmac_f32_e32 v90, 0x3f5db3d7, v80
	v_add_f32_e32 v80, v91, v109
	v_add_f32_e32 v107, v80, v103
	v_add_f32_e32 v80, v109, v103
	v_fma_f32 v91, -0.5, v80, v91
	v_sub_f32_e32 v80, v108, v102
	v_mov_b32_e32 v113, v91
	v_fmac_f32_e32 v113, 0x3f5db3d7, v80
	v_fmac_f32_e32 v91, 0xbf5db3d7, v80
	s_waitcnt lgkmcnt(1)
	v_add_f32_e32 v80, v92, v98
	v_add_f32_e32 v102, v80, v104
	;; [unrolled: 1-line block ×3, first 2 shown]
	v_fma_f32 v92, -0.5, v80, v92
	v_sub_f32_e32 v80, v99, v105
	v_mov_b32_e32 v108, v92
	v_fmac_f32_e32 v108, 0xbf5db3d7, v80
	v_fmac_f32_e32 v92, 0x3f5db3d7, v80
	v_add_f32_e32 v80, v93, v99
	v_add_f32_e32 v103, v80, v105
	;; [unrolled: 1-line block ×3, first 2 shown]
	v_fmac_f32_e32 v93, -0.5, v80
	v_sub_f32_e32 v80, v98, v104
	v_mov_b32_e32 v109, v93
	v_fmac_f32_e32 v109, 0x3f5db3d7, v80
	v_fmac_f32_e32 v93, 0xbf5db3d7, v80
	v_add_f32_e32 v80, v86, v100
	s_waitcnt lgkmcnt(0)
	v_add_f32_e32 v98, v80, v76
	v_add_f32_e32 v80, v100, v76
	v_fma_f32 v86, -0.5, v80, v86
	v_sub_f32_e32 v80, v101, v77
	v_mov_b32_e32 v104, v86
	v_fmac_f32_e32 v104, 0xbf5db3d7, v80
	v_fmac_f32_e32 v86, 0x3f5db3d7, v80
	v_add_f32_e32 v80, v87, v101
	v_add_f32_e32 v99, v80, v77
	;; [unrolled: 1-line block ×3, first 2 shown]
	v_fmac_f32_e32 v87, -0.5, v77
	v_sub_f32_e32 v76, v100, v76
	v_mov_b32_e32 v105, v87
	v_fmac_f32_e32 v105, 0x3f5db3d7, v76
	v_fmac_f32_e32 v87, 0xbf5db3d7, v76
	v_add_f32_e32 v76, v84, v78
	v_fma_f32 v76, -0.5, v76, v82
	v_sub_f32_e32 v77, v85, v79
	v_mov_b32_e32 v80, v76
	v_fmac_f32_e32 v80, 0xbf5db3d7, v77
	v_fmac_f32_e32 v76, 0x3f5db3d7, v77
	v_add_f32_e32 v77, v85, v79
	v_fma_f32 v77, -0.5, v77, v83
	v_sub_f32_e32 v100, v84, v78
	v_mov_b32_e32 v81, v77
	v_fmac_f32_e32 v81, 0x3f5db3d7, v100
	v_fmac_f32_e32 v77, 0xbf5db3d7, v100
	s_waitcnt lgkmcnt(0)
	; wave barrier
	ds_write2_b64 v153, v[166:167], v[168:169] offset1:1
	ds_write_b64 v153, v[94:95] offset:16
	ds_write2_b64 v154, v[88:89], v[110:111] offset1:1
	ds_write_b64 v154, v[96:97] offset:16
	;; [unrolled: 2-line block ×5, first 2 shown]
	s_and_saveexec_b64 s[2:3], s[0:1]
	s_cbranch_execz .LBB0_21
; %bb.20:
	v_add_f32_e32 v83, v83, v85
	v_add_f32_e32 v82, v82, v84
	;; [unrolled: 1-line block ×4, first 2 shown]
	v_lshl_add_u32 v82, v157, 3, v152
	ds_write2_b64 v82, v[78:79], v[80:81] offset1:1
	ds_write_b64 v82, v[76:77] offset:16
.LBB0_21:
	s_or_b64 exec, exec, s[2:3]
	s_waitcnt lgkmcnt(0)
	; wave barrier
	s_waitcnt lgkmcnt(0)
	ds_read2_b64 v[82:85], v149 offset1:27
	ds_read2_b64 v[86:89], v149 offset0:54 offset1:81
	ds_read2_b64 v[90:93], v149 offset0:108 offset1:135
	;; [unrolled: 1-line block ×4, first 2 shown]
	s_waitcnt lgkmcnt(4)
	v_mul_f32_e32 v78, v21, v85
	v_mul_f32_e32 v21, v21, v84
	v_fmac_f32_e32 v78, v20, v84
	v_fma_f32 v20, v20, v85, -v21
	s_waitcnt lgkmcnt(3)
	v_mul_f32_e32 v21, v23, v87
	v_mul_f32_e32 v23, v23, v86
	v_fmac_f32_e32 v21, v22, v86
	v_fma_f32 v22, v22, v87, -v23
	v_mul_f32_e32 v23, v13, v89
	v_mul_f32_e32 v13, v13, v88
	v_fmac_f32_e32 v23, v12, v88
	v_fma_f32 v12, v12, v89, -v13
	s_waitcnt lgkmcnt(2)
	v_mul_f32_e32 v13, v15, v91
	v_mul_f32_e32 v15, v15, v90
	v_fmac_f32_e32 v13, v14, v90
	v_fma_f32 v14, v14, v91, -v15
	v_mul_f32_e32 v15, v5, v93
	v_mul_f32_e32 v5, v5, v92
	v_add_u32_e32 v153, 0x800, v149
	v_fmac_f32_e32 v15, v4, v92
	v_fma_f32 v4, v4, v93, -v5
	s_waitcnt lgkmcnt(1)
	v_mul_f32_e32 v5, v7, v95
	v_mul_f32_e32 v7, v7, v94
	ds_read2_b64 v[102:105], v153 offset0:14 offset1:41
	ds_read2_b64 v[106:109], v153 offset0:68 offset1:95
	;; [unrolled: 1-line block ×3, first 2 shown]
	v_fmac_f32_e32 v5, v6, v94
	v_fma_f32 v6, v6, v95, -v7
	v_mul_f32_e32 v7, v1, v97
	v_mul_f32_e32 v1, v1, v96
	v_fmac_f32_e32 v7, v0, v96
	v_fma_f32 v0, v0, v97, -v1
	s_waitcnt lgkmcnt(3)
	v_mul_f32_e32 v1, v3, v99
	v_mul_f32_e32 v3, v3, v98
	v_fmac_f32_e32 v1, v2, v98
	v_fma_f32 v2, v2, v99, -v3
	v_mul_f32_e32 v3, v25, v101
	v_mul_f32_e32 v25, v25, v100
	v_fmac_f32_e32 v3, v24, v100
	v_fma_f32 v24, v24, v101, -v25
	s_waitcnt lgkmcnt(2)
	v_mul_f32_e32 v25, v27, v103
	v_mul_f32_e32 v27, v27, v102
	;; [unrolled: 9-line block ×4, first 2 shown]
	v_fmac_f32_e32 v9, v10, v110
	v_fma_f32 v10, v10, v111, -v11
	v_mul_f32_e32 v11, v148, v113
	v_fmac_f32_e32 v11, v147, v112
	v_sub_f32_e32 v1, v82, v1
	v_sub_f32_e32 v18, v14, v18
	;; [unrolled: 1-line block ×4, first 2 shown]
	v_fma_f32 v14, v14, 2.0, -v18
	v_sub_f32_e32 v25, v21, v25
	v_sub_f32_e32 v10, v6, v10
	;; [unrolled: 1-line block ×6, first 2 shown]
	v_add_f32_e32 v18, v1, v18
	v_mul_f32_e32 v79, v148, v112
	v_fma_f32 v82, v82, 2.0, -v1
	v_fma_f32 v13, v13, 2.0, -v17
	v_sub_f32_e32 v26, v22, v26
	v_sub_f32_e32 v9, v5, v9
	v_fma_f32 v6, v6, 2.0, -v10
	v_fma_f32 v78, v78, 2.0, -v3
	;; [unrolled: 1-line block ×5, first 2 shown]
	v_sub_f32_e32 v17, v2, v17
	v_fma_f32 v1, v1, 2.0, -v18
	v_add_f32_e32 v10, v25, v10
	v_fma_f32 v79, v147, v113, -v79
	v_fma_f32 v83, v83, 2.0, -v2
	v_fma_f32 v21, v21, 2.0, -v25
	;; [unrolled: 1-line block ×3, first 2 shown]
	v_sub_f32_e32 v8, v4, v8
	v_fma_f32 v2, v2, 2.0, -v17
	v_sub_f32_e32 v9, v26, v9
	v_fma_f32 v25, v25, 2.0, -v10
	v_sub_f32_e32 v15, v78, v15
	v_sub_f32_e32 v7, v23, v7
	v_mov_b32_e32 v84, v1
	v_fma_f32 v22, v22, 2.0, -v26
	v_sub_f32_e32 v24, v20, v24
	v_fma_f32 v4, v4, 2.0, -v8
	v_sub_f32_e32 v79, v0, v79
	v_fma_f32 v26, v26, 2.0, -v9
	v_fma_f32 v78, v78, 2.0, -v15
	v_add_f32_e32 v8, v3, v8
	v_fma_f32 v23, v23, 2.0, -v7
	v_fmac_f32_e32 v84, 0xbf3504f3, v25
	v_mov_b32_e32 v85, v2
	v_sub_f32_e32 v16, v12, v16
	v_fma_f32 v0, v0, 2.0, -v79
	v_sub_f32_e32 v19, v24, v19
	v_fma_f32 v3, v3, 2.0, -v8
	v_add_f32_e32 v79, v27, v79
	v_fmac_f32_e32 v85, 0xbf3504f3, v26
	v_fmac_f32_e32 v84, 0x3f3504f3, v26
	v_sub_f32_e32 v23, v78, v23
	v_fma_f32 v20, v20, 2.0, -v24
	v_fma_f32 v12, v12, 2.0, -v16
	;; [unrolled: 1-line block ×3, first 2 shown]
	v_sub_f32_e32 v11, v16, v11
	v_fma_f32 v27, v27, 2.0, -v79
	v_fmac_f32_e32 v85, 0xbf3504f3, v25
	v_fma_f32 v25, v1, 2.0, -v84
	v_fma_f32 v1, v78, 2.0, -v23
	v_mov_b32_e32 v78, v3
	v_sub_f32_e32 v13, v82, v13
	v_sub_f32_e32 v6, v22, v6
	;; [unrolled: 1-line block ×4, first 2 shown]
	v_fma_f32 v16, v16, 2.0, -v11
	v_fmac_f32_e32 v78, 0xbf3504f3, v27
	v_mov_b32_e32 v91, v24
	v_mov_b32_e32 v93, v8
	v_sub_f32_e32 v14, v83, v14
	v_sub_f32_e32 v5, v21, v5
	v_fma_f32 v20, v20, 2.0, -v4
	v_fma_f32 v12, v12, 2.0, -v0
	v_add_f32_e32 v86, v13, v6
	v_mov_b32_e32 v88, v18
	v_mov_b32_e32 v89, v17
	v_fmac_f32_e32 v91, 0xbf3504f3, v16
	v_fmac_f32_e32 v78, 0x3f3504f3, v16
	v_sub_f32_e32 v92, v4, v7
	v_fmac_f32_e32 v93, 0x3f3504f3, v79
	v_fma_f32 v82, v82, 2.0, -v13
	v_fma_f32 v22, v22, 2.0, -v6
	;; [unrolled: 1-line block ×3, first 2 shown]
	v_sub_f32_e32 v87, v14, v5
	v_fma_f32 v13, v13, 2.0, -v86
	v_fmac_f32_e32 v88, 0x3f3504f3, v10
	v_fmac_f32_e32 v89, 0x3f3504f3, v9
	v_sub_f32_e32 v90, v20, v12
	v_fmac_f32_e32 v91, 0xbf3504f3, v27
	v_fma_f32 v6, v3, 2.0, -v78
	v_add_f32_e32 v27, v15, v0
	v_fma_f32 v12, v4, 2.0, -v92
	v_fmac_f32_e32 v93, 0x3f3504f3, v11
	v_mov_b32_e32 v4, v25
	v_fma_f32 v83, v83, 2.0, -v14
	v_fma_f32 v21, v21, 2.0, -v5
	;; [unrolled: 1-line block ×3, first 2 shown]
	v_fmac_f32_e32 v88, 0x3f3504f3, v9
	v_fmac_f32_e32 v89, 0xbf3504f3, v10
	v_fma_f32 v9, v24, 2.0, -v91
	v_fma_f32 v10, v15, 2.0, -v27
	v_mov_b32_e32 v94, v19
	v_fma_f32 v15, v8, 2.0, -v93
	v_fmac_f32_e32 v4, 0xbf6c835e, v6
	v_mov_b32_e32 v5, v26
	v_mov_b32_e32 v8, v13
	v_fma_f32 v18, v18, 2.0, -v88
	v_fmac_f32_e32 v94, 0x3f3504f3, v11
	v_fmac_f32_e32 v5, 0xbf6c835e, v9
	;; [unrolled: 1-line block ×4, first 2 shown]
	v_mov_b32_e32 v9, v14
	v_fma_f32 v17, v17, 2.0, -v89
	v_fmac_f32_e32 v94, 0xbf3504f3, v79
	v_fmac_f32_e32 v9, 0xbf3504f3, v12
	v_fmac_f32_e32 v8, 0x3f3504f3, v12
	v_mov_b32_e32 v12, v18
	v_sub_f32_e32 v21, v82, v21
	v_fma_f32 v16, v19, 2.0, -v94
	v_fmac_f32_e32 v9, 0xbf3504f3, v10
	v_fma_f32 v10, v13, 2.0, -v8
	v_fmac_f32_e32 v12, 0xbec3ef15, v15
	v_mov_b32_e32 v13, v17
	v_fmac_f32_e32 v13, 0xbec3ef15, v16
	v_fmac_f32_e32 v12, 0x3f6c835e, v16
	v_add_f32_e32 v16, v21, v90
	v_fma_f32 v82, v82, 2.0, -v21
	v_fma_f32 v11, v14, 2.0, -v9
	;; [unrolled: 1-line block ×4, first 2 shown]
	v_mov_b32_e32 v21, v85
	v_fma_f32 v2, v20, 2.0, -v90
	v_mov_b32_e32 v20, v84
	v_fmac_f32_e32 v21, 0x3ec3ef15, v91
	v_sub_f32_e32 v22, v83, v22
	v_fmac_f32_e32 v5, 0xbec3ef15, v6
	v_fma_f32 v6, v25, 2.0, -v4
	v_fmac_f32_e32 v20, 0x3ec3ef15, v78
	v_fmac_f32_e32 v21, 0xbf6c835e, v78
	v_mov_b32_e32 v24, v86
	v_mov_b32_e32 v25, v87
	;; [unrolled: 1-line block ×4, first 2 shown]
	v_fma_f32 v83, v83, 2.0, -v22
	v_fmac_f32_e32 v13, 0xbf6c835e, v15
	v_fmac_f32_e32 v24, 0x3f3504f3, v27
	;; [unrolled: 1-line block ×5, first 2 shown]
	v_sub_f32_e32 v0, v82, v1
	v_sub_f32_e32 v1, v83, v2
	v_fma_f32 v15, v17, 2.0, -v13
	v_sub_f32_e32 v17, v22, v23
	v_fmac_f32_e32 v20, 0x3f6c835e, v91
	v_fmac_f32_e32 v24, 0x3f3504f3, v92
	;; [unrolled: 1-line block ×5, first 2 shown]
	v_fma_f32 v2, v82, 2.0, -v0
	v_fma_f32 v3, v83, 2.0, -v1
	;; [unrolled: 1-line block ×10, first 2 shown]
	s_waitcnt lgkmcnt(0)
	; wave barrier
	ds_write2_b64 v161, v[2:3], v[6:7] offset1:3
	ds_write2_b64 v161, v[10:11], v[14:15] offset0:6 offset1:9
	ds_write2_b64 v161, v[18:19], v[22:23] offset0:12 offset1:15
	;; [unrolled: 1-line block ×7, first 2 shown]
	s_waitcnt lgkmcnt(0)
	; wave barrier
	s_waitcnt lgkmcnt(0)
	ds_read2_b64 v[12:15], v149 offset1:27
	ds_read2_b64 v[4:7], v149 offset0:108 offset1:144
	ds_read2_b64 v[24:27], v153 offset0:32 offset1:59
	;; [unrolled: 1-line block ×6, first 2 shown]
	ds_read_b64 v[82:83], v149 offset:3168
	s_and_saveexec_b64 s[2:3], s[0:1]
	s_cbranch_execz .LBB0_23
; %bb.22:
	v_add_u32_e32 v76, 0x400, v149
	ds_read2_b64 v[78:81], v76 offset0:7 offset1:151
	ds_read_b64 v[76:77], v149 offset:3384
.LBB0_23:
	s_or_b64 exec, exec, s[2:3]
	s_waitcnt lgkmcnt(6)
	v_mul_f32_e32 v84, v33, v7
	v_fmac_f32_e32 v84, v32, v6
	v_mul_f32_e32 v6, v33, v6
	v_fma_f32 v32, v32, v7, -v6
	s_waitcnt lgkmcnt(5)
	v_mul_f32_e32 v33, v35, v25
	v_mul_f32_e32 v6, v35, v24
	v_fmac_f32_e32 v33, v34, v24
	v_fma_f32 v24, v34, v25, -v6
	s_waitcnt lgkmcnt(4)
	v_mul_f32_e32 v6, v49, v20
	v_mul_f32_e32 v25, v49, v21
	v_fma_f32 v21, v48, v21, -v6
	v_mul_f32_e32 v34, v51, v27
	v_mul_f32_e32 v6, v51, v26
	v_fmac_f32_e32 v34, v50, v26
	v_fma_f32 v26, v50, v27, -v6
	v_mul_f32_e32 v27, v41, v23
	v_mul_f32_e32 v6, v41, v22
	v_fmac_f32_e32 v27, v40, v22
	v_fma_f32 v35, v40, v23, -v6
	s_waitcnt lgkmcnt(2)
	v_mul_f32_e32 v40, v43, v17
	v_mul_f32_e32 v6, v43, v16
	v_fmac_f32_e32 v40, v42, v16
	v_fma_f32 v41, v42, v17, -v6
	s_waitcnt lgkmcnt(1)
	v_mul_f32_e32 v42, v37, v1
	v_fmac_f32_e32 v42, v36, v0
	v_mul_f32_e32 v0, v37, v0
	v_mul_f32_e32 v6, v39, v18
	v_fma_f32 v0, v36, v1, -v0
	v_mul_f32_e32 v1, v39, v19
	v_fma_f32 v36, v38, v19, -v6
	s_waitcnt lgkmcnt(0)
	v_mul_f32_e32 v6, v55, v82
	v_fmac_f32_e32 v1, v38, v18
	v_fma_f32 v38, v54, v83, -v6
	v_mul_f32_e32 v6, v45, v80
	v_fma_f32 v43, v44, v81, -v6
	v_mul_f32_e32 v6, v47, v76
	v_add_f32_e32 v7, v84, v33
	v_mul_f32_e32 v39, v45, v81
	v_fma_f32 v45, v46, v77, -v6
	v_add_f32_e32 v6, v12, v84
	v_fma_f32 v12, -0.5, v7, v12
	v_sub_f32_e32 v7, v32, v24
	v_mov_b32_e32 v16, v12
	v_add_f32_e32 v17, v32, v24
	v_fmac_f32_e32 v25, v48, v20
	v_fmac_f32_e32 v16, 0xbf5db3d7, v7
	;; [unrolled: 1-line block ×3, first 2 shown]
	v_add_f32_e32 v7, v13, v32
	v_fma_f32 v13, -0.5, v17, v13
	v_sub_f32_e32 v18, v84, v33
	v_mov_b32_e32 v17, v13
	v_add_f32_e32 v19, v25, v34
	v_fmac_f32_e32 v17, 0x3f5db3d7, v18
	v_fmac_f32_e32 v13, 0xbf5db3d7, v18
	v_add_f32_e32 v18, v14, v25
	v_fma_f32 v14, -0.5, v19, v14
	v_sub_f32_e32 v19, v21, v26
	v_mov_b32_e32 v20, v14
	v_fmac_f32_e32 v20, 0xbf5db3d7, v19
	v_fmac_f32_e32 v14, 0x3f5db3d7, v19
	v_add_f32_e32 v19, v15, v21
	v_add_f32_e32 v21, v21, v26
	v_fmac_f32_e32 v15, -0.5, v21
	v_sub_f32_e32 v22, v25, v34
	v_mov_b32_e32 v21, v15
	v_add_f32_e32 v23, v27, v40
	v_fmac_f32_e32 v21, 0x3f5db3d7, v22
	v_fmac_f32_e32 v15, 0xbf5db3d7, v22
	v_add_f32_e32 v22, v8, v27
	v_fma_f32 v8, -0.5, v23, v8
	v_add_f32_e32 v7, v7, v24
	v_sub_f32_e32 v23, v35, v41
	v_mov_b32_e32 v24, v8
	v_add_f32_e32 v25, v35, v41
	v_fmac_f32_e32 v24, 0xbf5db3d7, v23
	v_fmac_f32_e32 v8, 0x3f5db3d7, v23
	v_add_f32_e32 v23, v9, v35
	v_fma_f32 v9, -0.5, v25, v9
	v_add_f32_e32 v19, v19, v26
	v_sub_f32_e32 v26, v27, v40
	v_mov_b32_e32 v25, v9
	v_add_f32_e32 v27, v42, v1
	v_fmac_f32_e32 v25, 0x3f5db3d7, v26
	v_fmac_f32_e32 v9, 0xbf5db3d7, v26
	v_add_f32_e32 v26, v10, v42
	v_fma_f32 v10, -0.5, v27, v10
	v_sub_f32_e32 v27, v0, v36
	v_mov_b32_e32 v32, v10
	v_mul_f32_e32 v37, v53, v3
	v_fmac_f32_e32 v32, 0xbf5db3d7, v27
	v_fmac_f32_e32 v10, 0x3f5db3d7, v27
	v_add_f32_e32 v27, v11, v0
	v_add_f32_e32 v0, v0, v36
	v_fmac_f32_e32 v37, v52, v2
	v_mul_f32_e32 v2, v53, v2
	v_fmac_f32_e32 v11, -0.5, v0
	v_fma_f32 v2, v52, v3, -v2
	v_mul_f32_e32 v3, v55, v83
	v_add_f32_e32 v6, v6, v33
	v_sub_f32_e32 v0, v42, v1
	v_mov_b32_e32 v33, v11
	v_fmac_f32_e32 v3, v54, v82
	v_fmac_f32_e32 v33, 0x3f5db3d7, v0
	;; [unrolled: 1-line block ×3, first 2 shown]
	v_add_f32_e32 v0, v4, v37
	v_add_f32_e32 v18, v18, v34
	;; [unrolled: 1-line block ×4, first 2 shown]
	v_fma_f32 v4, -0.5, v0, v4
	v_add_f32_e32 v27, v27, v36
	v_sub_f32_e32 v0, v2, v38
	v_mov_b32_e32 v36, v4
	v_fmac_f32_e32 v36, 0xbf5db3d7, v0
	v_fmac_f32_e32 v4, 0x3f5db3d7, v0
	v_add_f32_e32 v0, v5, v2
	v_fmac_f32_e32 v39, v44, v80
	v_mul_f32_e32 v44, v47, v77
	v_add_f32_e32 v35, v0, v38
	v_add_f32_e32 v0, v2, v38
	v_fmac_f32_e32 v44, v46, v76
	v_fmac_f32_e32 v5, -0.5, v0
	v_add_f32_e32 v26, v26, v1
	v_sub_f32_e32 v0, v37, v3
	v_mov_b32_e32 v37, v5
	v_add_f32_e32 v1, v39, v44
	v_fmac_f32_e32 v37, 0x3f5db3d7, v0
	v_fmac_f32_e32 v5, 0xbf5db3d7, v0
	v_add_f32_e32 v0, v78, v39
	v_fmac_f32_e32 v78, -0.5, v1
	v_sub_f32_e32 v1, v43, v45
	v_mov_b32_e32 v2, v78
	v_add_f32_e32 v3, v43, v45
	v_fmac_f32_e32 v2, 0xbf5db3d7, v1
	v_fmac_f32_e32 v78, 0x3f5db3d7, v1
	v_add_f32_e32 v1, v79, v43
	v_fmac_f32_e32 v79, -0.5, v3
	v_sub_f32_e32 v38, v39, v44
	v_mov_b32_e32 v3, v79
	v_add_f32_e32 v22, v22, v40
	v_add_f32_e32 v23, v23, v41
	;; [unrolled: 1-line block ×4, first 2 shown]
	v_fmac_f32_e32 v3, 0x3f5db3d7, v38
	v_fmac_f32_e32 v79, 0xbf5db3d7, v38
	s_waitcnt lgkmcnt(0)
	; wave barrier
	ds_write2_b64 v149, v[6:7], v[16:17] offset1:48
	ds_write_b64 v149, v[12:13] offset:768
	ds_write2_b64 v162, v[18:19], v[20:21] offset1:48
	ds_write_b64 v162, v[14:15] offset:768
	ds_write_b64 v149, v[22:23] offset:1200
	;; [unrolled: 1-line block ×4, first 2 shown]
	ds_write2_b64 v163, v[26:27], v[32:33] offset1:48
	ds_write_b64 v163, v[10:11] offset:768
	v_add_u32_e32 v6, 0x800, v164
	ds_write2_b64 v6, v[34:35], v[36:37] offset0:32 offset1:80
	ds_write_b64 v164, v[4:5] offset:3072
	s_and_saveexec_b64 s[2:3], s[0:1]
	s_cbranch_execz .LBB0_25
; %bb.24:
	v_and_b32_e32 v4, 0xff, v159
	v_lshl_add_u32 v4, v4, 3, v152
	v_add_u32_e32 v5, 0x800, v4
	ds_write2_b64 v5, v[0:1], v[2:3] offset0:32 offset1:80
	ds_write_b64 v4, v[78:79] offset:3072
.LBB0_25:
	s_or_b64 exec, exec, s[2:3]
	v_add_u32_e32 v39, 0x800, v149
	s_waitcnt lgkmcnt(0)
	; wave barrier
	s_waitcnt lgkmcnt(0)
	ds_read2_b64 v[8:11], v149 offset1:27
	ds_read2_b64 v[4:7], v149 offset0:108 offset1:144
	ds_read2_b64 v[32:35], v39 offset0:32 offset1:59
	;; [unrolled: 1-line block ×6, first 2 shown]
	ds_read_b64 v[36:37], v149 offset:3168
	v_add_u32_e32 v38, 0x360, v160
	s_and_saveexec_b64 s[2:3], s[0:1]
	s_cbranch_execz .LBB0_27
; %bb.26:
	v_add_u32_e32 v0, 0x400, v149
	ds_read2_b64 v[0:3], v0 offset0:7 offset1:151
	ds_read_b64 v[78:79], v149 offset:3384
.LBB0_27:
	s_or_b64 exec, exec, s[2:3]
	s_waitcnt lgkmcnt(6)
	v_mul_f32_e32 v40, v57, v7
	v_fmac_f32_e32 v40, v56, v6
	v_mul_f32_e32 v6, v57, v6
	v_fma_f32 v41, v56, v7, -v6
	s_waitcnt lgkmcnt(5)
	v_mul_f32_e32 v42, v59, v33
	v_mul_f32_e32 v6, v59, v32
	v_fmac_f32_e32 v42, v58, v32
	v_fma_f32 v32, v58, v33, -v6
	s_waitcnt lgkmcnt(4)
	v_mul_f32_e32 v33, v61, v25
	v_mul_f32_e32 v6, v61, v24
	v_fmac_f32_e32 v33, v60, v24
	v_fma_f32 v24, v60, v25, -v6
	v_mul_f32_e32 v25, v63, v35
	v_mul_f32_e32 v6, v63, v34
	v_fmac_f32_e32 v25, v62, v34
	v_fma_f32 v34, v62, v35, -v6
	;; [unrolled: 4-line block ×3, first 2 shown]
	s_waitcnt lgkmcnt(2)
	v_mul_f32_e32 v6, v67, v20
	v_fma_f32 v43, v66, v21, -v6
	s_waitcnt lgkmcnt(1)
	v_mul_f32_e32 v6, v69, v16
	v_fma_f32 v45, v68, v17, -v6
	v_mul_f32_e32 v6, v71, v22
	v_fma_f32 v47, v70, v23, -v6
	;; [unrolled: 2-line block ×3, first 2 shown]
	s_waitcnt lgkmcnt(0)
	v_mul_f32_e32 v6, v75, v36
	v_add_f32_e32 v7, v40, v42
	v_mul_f32_e32 v44, v69, v17
	v_mul_f32_e32 v50, v75, v37
	v_fma_f32 v37, v74, v37, -v6
	v_add_f32_e32 v6, v8, v40
	v_fma_f32 v8, -0.5, v7, v8
	v_fmac_f32_e32 v44, v68, v16
	v_sub_f32_e32 v7, v41, v32
	v_mov_b32_e32 v16, v8
	v_add_f32_e32 v17, v41, v32
	v_mul_f32_e32 v48, v73, v19
	v_fmac_f32_e32 v16, 0xbf5db3d7, v7
	v_fmac_f32_e32 v8, 0x3f5db3d7, v7
	v_add_f32_e32 v7, v9, v41
	v_fma_f32 v9, -0.5, v17, v9
	v_fmac_f32_e32 v48, v72, v18
	v_sub_f32_e32 v18, v40, v42
	v_mov_b32_e32 v17, v9
	v_add_f32_e32 v19, v33, v25
	v_mul_f32_e32 v27, v67, v21
	v_fmac_f32_e32 v17, 0x3f5db3d7, v18
	v_fmac_f32_e32 v9, 0xbf5db3d7, v18
	;; [unrolled: 9-line block ×3, first 2 shown]
	v_add_f32_e32 v19, v11, v24
	v_fmac_f32_e32 v11, -0.5, v21
	v_fmac_f32_e32 v46, v70, v22
	v_sub_f32_e32 v22, v33, v25
	v_mov_b32_e32 v21, v11
	v_add_f32_e32 v23, v35, v27
	v_fmac_f32_e32 v21, 0x3f5db3d7, v22
	v_fmac_f32_e32 v11, 0xbf5db3d7, v22
	v_add_f32_e32 v22, v12, v35
	v_fma_f32 v12, -0.5, v23, v12
	v_add_f32_e32 v18, v18, v25
	v_sub_f32_e32 v23, v26, v43
	v_mov_b32_e32 v24, v12
	v_add_f32_e32 v25, v26, v43
	v_fmac_f32_e32 v24, 0xbf5db3d7, v23
	v_fmac_f32_e32 v12, 0x3f5db3d7, v23
	v_add_f32_e32 v23, v13, v26
	v_fma_f32 v13, -0.5, v25, v13
	v_add_f32_e32 v22, v22, v27
	;; [unrolled: 8-line block ×3, first 2 shown]
	v_sub_f32_e32 v27, v45, v47
	v_mov_b32_e32 v32, v14
	v_add_f32_e32 v33, v45, v47
	v_fmac_f32_e32 v50, v74, v36
	v_fmac_f32_e32 v32, 0xbf5db3d7, v27
	;; [unrolled: 1-line block ×3, first 2 shown]
	v_add_f32_e32 v27, v15, v45
	v_fmac_f32_e32 v15, -0.5, v33
	v_add_f32_e32 v19, v19, v34
	v_sub_f32_e32 v34, v44, v46
	v_mov_b32_e32 v33, v15
	v_add_f32_e32 v35, v48, v50
	v_fmac_f32_e32 v33, 0x3f5db3d7, v34
	v_fmac_f32_e32 v15, 0xbf5db3d7, v34
	v_add_f32_e32 v34, v4, v48
	v_fma_f32 v4, -0.5, v35, v4
	v_sub_f32_e32 v35, v49, v37
	v_mov_b32_e32 v36, v4
	v_fmac_f32_e32 v36, 0xbf5db3d7, v35
	v_fmac_f32_e32 v4, 0x3f5db3d7, v35
	v_add_f32_e32 v35, v5, v49
	v_add_f32_e32 v35, v35, v37
	;; [unrolled: 1-line block ×3, first 2 shown]
	v_fmac_f32_e32 v5, -0.5, v37
	v_add_f32_e32 v6, v6, v42
	v_sub_f32_e32 v40, v48, v50
	v_mov_b32_e32 v37, v5
	v_add_f32_e32 v23, v23, v43
	v_add_f32_e32 v26, v26, v46
	;; [unrolled: 1-line block ×3, first 2 shown]
	v_fmac_f32_e32 v37, 0x3f5db3d7, v40
	v_fmac_f32_e32 v5, 0xbf5db3d7, v40
	ds_write2_b64 v149, v[6:7], v[18:19] offset1:27
	ds_write2_b64 v149, v[20:21], v[24:25] offset0:171 offset1:198
	ds_write2_b64 v39, v[10:11], v[12:13] offset0:59 offset1:86
	ds_write2_b64 v149, v[22:23], v[26:27] offset0:54 offset1:81
	v_add_u32_e32 v6, 0x400, v149
	v_add_u32_e32 v7, 0x400, v38
	v_add_f32_e32 v34, v34, v50
	ds_write2_b64 v6, v[32:33], v[8:9] offset0:97 offset1:160
	ds_write_b64 v149, v[14:15] offset:2952
	ds_write2_b64 v149, v[34:35], v[16:17] offset0:108 offset1:144
	ds_write2_b64 v7, v[36:37], v[4:5] offset0:16 offset1:160
	s_and_saveexec_b64 s[2:3], s[0:1]
	s_cbranch_execz .LBB0_29
; %bb.28:
	v_mul_f32_e32 v4, v29, v2
	v_fma_f32 v5, v28, v3, -v4
	v_mul_f32_e32 v4, v31, v78
	v_fma_f32 v7, v30, v79, -v4
	v_add_f32_e32 v4, v5, v7
	v_mul_f32_e32 v9, v29, v3
	v_mul_f32_e32 v10, v31, v79
	v_fma_f32 v4, -0.5, v4, v1
	v_fmac_f32_e32 v9, v28, v2
	v_fmac_f32_e32 v10, v30, v78
	v_add_f32_e32 v1, v1, v5
	v_sub_f32_e32 v3, v9, v10
	v_mov_b32_e32 v2, v4
	v_add_f32_e32 v8, v1, v7
	v_add_f32_e32 v1, v9, v10
	v_fmac_f32_e32 v2, 0xbf5db3d7, v3
	v_fmac_f32_e32 v4, 0x3f5db3d7, v3
	v_fma_f32 v3, -0.5, v1, v0
	v_sub_f32_e32 v5, v5, v7
	v_add_f32_e32 v0, v0, v9
	v_mov_b32_e32 v1, v3
	v_fmac_f32_e32 v3, 0xbf5db3d7, v5
	v_add_f32_e32 v7, v0, v10
	v_fmac_f32_e32 v1, 0x3f5db3d7, v5
	ds_write2_b64 v6, v[7:8], v[3:4] offset0:7 offset1:151
	ds_write_b64 v149, v[1:2] offset:3384
.LBB0_29:
	s_or_b64 exec, exec, s[2:3]
	v_mad_u64_u32 v[8:9], s[2:3], s10, v138, 0
	s_waitcnt lgkmcnt(0)
	; wave barrier
	s_waitcnt lgkmcnt(0)
	ds_read2_b64 v[0:3], v149 offset1:27
	v_mov_b32_e32 v4, v9
	v_mad_u64_u32 v[4:5], s[2:3], s11, v138, v[4:5]
	s_mov_b32 s2, 0xbda12f68
	s_waitcnt lgkmcnt(0)
	v_mul_f32_e32 v5, v146, v1
	v_fmac_f32_e32 v5, v145, v0
	v_cvt_f64_f32_e32 v[5:6], v5
	s_mov_b32 s3, 0x3f62f684
	v_mul_f32_e32 v0, v146, v0
	v_fma_f32 v0, v145, v1, -v0
	v_mul_f64 v[5:6], v[5:6], s[2:3]
	v_cvt_f64_f32_e32 v[0:1], v0
	v_mad_u64_u32 v[10:11], s[4:5], s8, v151, 0
	v_mov_b32_e32 v9, v4
	v_mul_f64 v[0:1], v[0:1], s[2:3]
	v_mov_b32_e32 v4, v11
	v_mov_b32_e32 v14, s7
	v_mad_u64_u32 v[11:12], s[4:5], s9, v151, v[4:5]
	v_cvt_f32_f64_e32 v12, v[5:6]
	ds_read2_b64 v[4:7], v149 offset0:108 offset1:144
	v_add_u32_e32 v20, 0x800, v149
	v_cvt_f32_f64_e32 v13, v[0:1]
	v_lshlrev_b64 v[0:1], 3, v[8:9]
	s_mul_i32 s4, s9, 0x90
	s_waitcnt lgkmcnt(0)
	v_mul_f32_e32 v8, v144, v7
	v_fmac_f32_e32 v8, v143, v6
	v_mul_f32_e32 v6, v144, v6
	v_fma_f32 v6, v143, v7, -v6
	v_cvt_f64_f32_e32 v[8:9], v8
	v_cvt_f64_f32_e32 v[6:7], v6
	v_add_co_u32_e32 v18, vcc, s6, v0
	v_addc_co_u32_e32 v19, vcc, v14, v1, vcc
	v_mul_f64 v[0:1], v[8:9], s[2:3]
	v_mul_f64 v[6:7], v[6:7], s[2:3]
	v_lshlrev_b64 v[8:9], 3, v[10:11]
	v_mad_u64_u32 v[14:15], s[6:7], s8, v150, 0
	v_add_co_u32_e32 v10, vcc, v18, v8
	v_addc_co_u32_e32 v11, vcc, v19, v9, vcc
	v_cvt_f32_f64_e32 v0, v[0:1]
	v_cvt_f32_f64_e32 v1, v[6:7]
	ds_read2_b64 v[6:9], v20 offset0:32 offset1:59
	global_store_dwordx2 v[10:11], v[12:13], off
	s_mul_hi_u32 s5, s8, 0x90
	s_add_i32 s5, s5, s4
	s_mul_i32 s4, s8, 0x90
	s_waitcnt lgkmcnt(0)
	v_mul_f32_e32 v12, v142, v7
	v_fmac_f32_e32 v12, v141, v6
	v_mul_f32_e32 v6, v142, v6
	v_fma_f32 v6, v141, v7, -v6
	v_cvt_f64_f32_e32 v[12:13], v12
	v_cvt_f64_f32_e32 v[6:7], v6
	s_lshl_b64 s[4:5], s[4:5], 3
	v_mov_b32_e32 v21, s5
	v_mul_f64 v[12:13], v[12:13], s[2:3]
	v_mul_f64 v[6:7], v[6:7], s[2:3]
	v_add_co_u32_e32 v10, vcc, s4, v10
	v_mad_u64_u32 v[15:16], s[6:7], s9, v150, v[15:16]
	v_addc_co_u32_e32 v11, vcc, v11, v21, vcc
	global_store_dwordx2 v[10:11], v[0:1], off
	v_mul_f32_e32 v0, v140, v3
	v_fmac_f32_e32 v0, v139, v2
	v_cvt_f32_f64_e32 v12, v[12:13]
	v_cvt_f32_f64_e32 v13, v[6:7]
	v_lshlrev_b64 v[6:7], 3, v[14:15]
	v_cvt_f64_f32_e32 v[14:15], v0
	v_mul_f32_e32 v0, v140, v2
	v_fma_f32 v0, v139, v3, -v0
	v_cvt_f64_f32_e32 v[16:17], v0
	ds_read2_b64 v[0:3], v149 offset0:171 offset1:198
	v_add_co_u32_e32 v6, vcc, v18, v6
	v_addc_co_u32_e32 v7, vcc, v19, v7, vcc
	global_store_dwordx2 v[6:7], v[12:13], off
	v_mul_f64 v[6:7], v[14:15], s[2:3]
	s_waitcnt lgkmcnt(0)
	v_mul_f32_e32 v14, v137, v1
	v_fmac_f32_e32 v14, v136, v0
	v_mul_f32_e32 v0, v137, v0
	v_mul_f64 v[12:13], v[16:17], s[2:3]
	v_fma_f32 v0, v136, v1, -v0
	v_cvt_f64_f32_e32 v[0:1], v0
	v_cvt_f64_f32_e32 v[14:15], v14
	v_cvt_f32_f64_e32 v6, v[6:7]
	v_mov_b32_e32 v7, 0xfffffc58
	v_mul_f64 v[0:1], v[0:1], s[2:3]
	v_mul_f64 v[14:15], v[14:15], s[2:3]
	v_mad_u64_u32 v[10:11], s[6:7], s8, v7, v[10:11]
	v_cvt_f32_f64_e32 v7, v[12:13]
	s_mul_i32 s6, s9, 0xfffffc58
	s_sub_i32 s6, s6, s8
	v_add_u32_e32 v11, s6, v11
	global_store_dwordx2 v[10:11], v[6:7], off
	v_mul_f32_e32 v6, v135, v8
	v_cvt_f32_f64_e32 v13, v[0:1]
	v_mul_f32_e32 v0, v135, v9
	v_fma_f32 v6, v134, v9, -v6
	v_cvt_f32_f64_e32 v12, v[14:15]
	v_fmac_f32_e32 v0, v134, v8
	v_cvt_f64_f32_e32 v[14:15], v6
	ds_read2_b64 v[6:9], v149 offset0:54 offset1:81
	v_cvt_f64_f32_e32 v[0:1], v0
	v_add_co_u32_e32 v10, vcc, s4, v10
	v_mul_f64 v[14:15], v[14:15], s[2:3]
	s_waitcnt lgkmcnt(0)
	v_mul_f32_e32 v16, v133, v7
	v_mul_f64 v[0:1], v[0:1], s[2:3]
	v_fmac_f32_e32 v16, v132, v6
	v_mul_f32_e32 v6, v133, v6
	v_fma_f32 v6, v132, v7, -v6
	v_cvt_f64_f32_e32 v[16:17], v16
	v_cvt_f64_f32_e32 v[6:7], v6
	v_addc_co_u32_e32 v11, vcc, v11, v21, vcc
	global_store_dwordx2 v[10:11], v[12:13], off
	v_mul_f64 v[12:13], v[16:17], s[2:3]
	v_mul_f64 v[6:7], v[6:7], s[2:3]
	v_cvt_f32_f64_e32 v0, v[0:1]
	v_cvt_f32_f64_e32 v1, v[14:15]
	v_add_co_u32_e32 v10, vcc, s4, v10
	v_addc_co_u32_e32 v11, vcc, v11, v21, vcc
	global_store_dwordx2 v[10:11], v[0:1], off
	v_mul_f32_e32 v0, v131, v3
	v_fmac_f32_e32 v0, v130, v2
	v_cvt_f32_f64_e32 v12, v[12:13]
	v_cvt_f32_f64_e32 v13, v[6:7]
	v_cvt_f64_f32_e32 v[6:7], v0
	v_mul_f32_e32 v0, v131, v2
	v_fma_f32 v0, v130, v3, -v0
	v_cvt_f64_f32_e32 v[14:15], v0
	ds_read2_b64 v[0:3], v20 offset0:86 offset1:113
	s_mul_hi_u32 s7, s8, 0xfffffefb
	s_mul_i32 s6, s9, 0xfffffefb
	s_sub_i32 s7, s7, s8
	v_mul_f64 v[6:7], v[6:7], s[2:3]
	s_waitcnt lgkmcnt(0)
	v_mul_f32_e32 v16, v129, v1
	v_fmac_f32_e32 v16, v128, v0
	v_mul_f32_e32 v0, v129, v0
	v_mul_f64 v[14:15], v[14:15], s[2:3]
	v_fma_f32 v0, v128, v1, -v0
	s_add_i32 s7, s7, s6
	s_mul_i32 s6, s8, 0xfffffefb
	v_cvt_f64_f32_e32 v[16:17], v16
	v_cvt_f64_f32_e32 v[0:1], v0
	s_lshl_b64 s[6:7], s[6:7], 3
	v_mov_b32_e32 v18, s7
	v_add_co_u32_e32 v10, vcc, s6, v10
	v_addc_co_u32_e32 v11, vcc, v11, v18, vcc
	global_store_dwordx2 v[10:11], v[12:13], off
	v_mul_f64 v[12:13], v[16:17], s[2:3]
	v_mul_f64 v[0:1], v[0:1], s[2:3]
	v_cvt_f32_f64_e32 v6, v[6:7]
	v_cvt_f32_f64_e32 v7, v[14:15]
	v_add_co_u32_e32 v10, vcc, s4, v10
	v_addc_co_u32_e32 v11, vcc, v11, v21, vcc
	global_store_dwordx2 v[10:11], v[6:7], off
	v_mul_f32_e32 v6, v127, v8
	v_cvt_f32_f64_e32 v12, v[12:13]
	v_cvt_f32_f64_e32 v13, v[0:1]
	v_mul_f32_e32 v0, v127, v9
	v_fma_f32 v6, v126, v9, -v6
	v_fmac_f32_e32 v0, v126, v8
	v_cvt_f64_f32_e32 v[14:15], v6
	ds_read2_b64 v[6:9], v149 offset0:225 offset1:252
	v_cvt_f64_f32_e32 v[0:1], v0
	v_add_co_u32_e32 v10, vcc, s4, v10
	v_mul_f64 v[14:15], v[14:15], s[2:3]
	s_waitcnt lgkmcnt(0)
	v_mul_f32_e32 v16, v125, v7
	v_fmac_f32_e32 v16, v124, v6
	v_mul_f32_e32 v6, v125, v6
	v_fma_f32 v6, v124, v7, -v6
	v_mul_f64 v[0:1], v[0:1], s[2:3]
	v_cvt_f64_f32_e32 v[6:7], v6
	v_cvt_f64_f32_e32 v[16:17], v16
	v_addc_co_u32_e32 v11, vcc, v11, v21, vcc
	v_mul_f64 v[6:7], v[6:7], s[2:3]
	global_store_dwordx2 v[10:11], v[12:13], off
	v_mul_f64 v[12:13], v[16:17], s[2:3]
	v_cvt_f32_f64_e32 v0, v[0:1]
	v_cvt_f32_f64_e32 v1, v[14:15]
	v_add_co_u32_e32 v10, vcc, s6, v10
	v_addc_co_u32_e32 v11, vcc, v11, v18, vcc
	global_store_dwordx2 v[10:11], v[0:1], off
	v_cvt_f32_f64_e32 v1, v[6:7]
	v_mul_f32_e32 v6, v123, v3
	v_fmac_f32_e32 v6, v122, v2
	v_cvt_f64_f32_e32 v[6:7], v6
	v_mul_f32_e32 v2, v123, v2
	v_fma_f32 v2, v122, v3, -v2
	v_cvt_f64_f32_e32 v[2:3], v2
	v_cvt_f32_f64_e32 v0, v[12:13]
	v_mul_f64 v[6:7], v[6:7], s[2:3]
	v_mul_f32_e32 v12, v121, v5
	v_fmac_f32_e32 v12, v120, v4
	v_mul_f32_e32 v4, v121, v4
	v_fma_f32 v4, v120, v5, -v4
	v_mul_f64 v[2:3], v[2:3], s[2:3]
	v_cvt_f64_f32_e32 v[4:5], v4
	v_cvt_f64_f32_e32 v[12:13], v12
	v_add_co_u32_e32 v10, vcc, s4, v10
	v_addc_co_u32_e32 v11, vcc, v11, v21, vcc
	v_mul_f64 v[4:5], v[4:5], s[2:3]
	global_store_dwordx2 v[10:11], v[0:1], off
	v_cvt_f32_f64_e32 v0, v[6:7]
	v_mul_f64 v[6:7], v[12:13], s[2:3]
	v_cvt_f32_f64_e32 v1, v[2:3]
	v_add_co_u32_e32 v2, vcc, s4, v10
	v_addc_co_u32_e32 v3, vcc, v11, v21, vcc
	global_store_dwordx2 v[2:3], v[0:1], off
	v_cvt_f32_f64_e32 v1, v[4:5]
	v_mul_f32_e32 v4, v119, v9
	v_cvt_f32_f64_e32 v0, v[6:7]
	v_fmac_f32_e32 v4, v118, v8
	v_mul_f32_e32 v6, v119, v8
	v_cvt_f64_f32_e32 v[4:5], v4
	v_fma_f32 v6, v118, v9, -v6
	ds_read_b64 v[8:9], v149 offset:3168
	v_cvt_f64_f32_e32 v[6:7], v6
	v_mul_f64 v[4:5], v[4:5], s[2:3]
	v_add_co_u32_e32 v2, vcc, s6, v2
	s_waitcnt lgkmcnt(0)
	v_mul_f32_e32 v10, v117, v9
	v_fmac_f32_e32 v10, v116, v8
	v_mul_f32_e32 v8, v117, v8
	v_fma_f32 v8, v116, v9, -v8
	v_cvt_f64_f32_e32 v[10:11], v10
	v_cvt_f64_f32_e32 v[8:9], v8
	v_mul_f64 v[6:7], v[6:7], s[2:3]
	v_addc_co_u32_e32 v3, vcc, v3, v18, vcc
	global_store_dwordx2 v[2:3], v[0:1], off
	v_cvt_f32_f64_e32 v0, v[4:5]
	v_mul_f64 v[4:5], v[10:11], s[2:3]
	v_mul_f64 v[8:9], v[8:9], s[2:3]
	v_add_co_u32_e32 v2, vcc, s4, v2
	v_cvt_f32_f64_e32 v1, v[6:7]
	v_addc_co_u32_e32 v3, vcc, v3, v21, vcc
	v_cvt_f32_f64_e32 v4, v[4:5]
	v_cvt_f32_f64_e32 v5, v[8:9]
	global_store_dwordx2 v[2:3], v[0:1], off
	v_add_co_u32_e32 v0, vcc, s4, v2
	v_addc_co_u32_e32 v1, vcc, v3, v21, vcc
	global_store_dwordx2 v[0:1], v[4:5], off
	s_and_b64 exec, exec, s[0:1]
	s_cbranch_execz .LBB0_31
; %bb.30:
	global_load_dwordx2 v[6:7], v[114:115], off offset:1080
	v_add_u32_e32 v2, 0x400, v149
	ds_read2_b64 v[2:5], v2 offset0:7 offset1:151
	v_add_co_u32_e32 v0, vcc, s6, v0
	s_waitcnt vmcnt(0) lgkmcnt(0)
	v_mul_f32_e32 v8, v3, v7
	v_mul_f32_e32 v7, v2, v7
	v_fmac_f32_e32 v8, v2, v6
	v_fma_f32 v6, v6, v3, -v7
	v_cvt_f64_f32_e32 v[2:3], v8
	v_cvt_f64_f32_e32 v[6:7], v6
	v_mov_b32_e32 v8, s7
	v_addc_co_u32_e32 v1, vcc, v1, v8, vcc
	v_mul_f64 v[2:3], v[2:3], s[2:3]
	v_mul_f64 v[6:7], v[6:7], s[2:3]
	v_cvt_f32_f64_e32 v2, v[2:3]
	v_cvt_f32_f64_e32 v3, v[6:7]
	global_store_dwordx2 v[0:1], v[2:3], off
	global_load_dwordx2 v[2:3], v[114:115], off offset:2232
	v_add_co_u32_e32 v0, vcc, s4, v0
	s_waitcnt vmcnt(0)
	v_mul_f32_e32 v6, v5, v3
	v_mul_f32_e32 v3, v4, v3
	v_fmac_f32_e32 v6, v4, v2
	v_fma_f32 v4, v2, v5, -v3
	v_cvt_f64_f32_e32 v[2:3], v6
	v_cvt_f64_f32_e32 v[4:5], v4
	v_mov_b32_e32 v6, s5
	v_addc_co_u32_e32 v1, vcc, v1, v6, vcc
	v_mul_f64 v[2:3], v[2:3], s[2:3]
	v_mul_f64 v[4:5], v[4:5], s[2:3]
	v_cvt_f32_f64_e32 v2, v[2:3]
	v_cvt_f32_f64_e32 v3, v[4:5]
	ds_read_b64 v[4:5], v149 offset:3384
	global_store_dwordx2 v[0:1], v[2:3], off
	global_load_dwordx2 v[2:3], v[114:115], off offset:3384
	v_add_co_u32_e32 v0, vcc, s4, v0
	v_addc_co_u32_e32 v1, vcc, v1, v6, vcc
	s_waitcnt vmcnt(0) lgkmcnt(0)
	v_mul_f32_e32 v7, v5, v3
	v_mul_f32_e32 v3, v4, v3
	v_fmac_f32_e32 v7, v4, v2
	v_fma_f32 v4, v2, v5, -v3
	v_cvt_f64_f32_e32 v[2:3], v7
	v_cvt_f64_f32_e32 v[4:5], v4
	v_mul_f64 v[2:3], v[2:3], s[2:3]
	v_mul_f64 v[4:5], v[4:5], s[2:3]
	v_cvt_f32_f64_e32 v2, v[2:3]
	v_cvt_f32_f64_e32 v3, v[4:5]
	global_store_dwordx2 v[0:1], v[2:3], off
.LBB0_31:
	s_endpgm
	.section	.rodata,"a",@progbits
	.p2align	6, 0x0
	.amdhsa_kernel bluestein_single_back_len432_dim1_sp_op_CI_CI
		.amdhsa_group_segment_fixed_size 6912
		.amdhsa_private_segment_fixed_size 0
		.amdhsa_kernarg_size 104
		.amdhsa_user_sgpr_count 6
		.amdhsa_user_sgpr_private_segment_buffer 1
		.amdhsa_user_sgpr_dispatch_ptr 0
		.amdhsa_user_sgpr_queue_ptr 0
		.amdhsa_user_sgpr_kernarg_segment_ptr 1
		.amdhsa_user_sgpr_dispatch_id 0
		.amdhsa_user_sgpr_flat_scratch_init 0
		.amdhsa_user_sgpr_private_segment_size 0
		.amdhsa_uses_dynamic_stack 0
		.amdhsa_system_sgpr_private_segment_wavefront_offset 0
		.amdhsa_system_sgpr_workgroup_id_x 1
		.amdhsa_system_sgpr_workgroup_id_y 0
		.amdhsa_system_sgpr_workgroup_id_z 0
		.amdhsa_system_sgpr_workgroup_info 0
		.amdhsa_system_vgpr_workitem_id 0
		.amdhsa_next_free_vgpr 205
		.amdhsa_next_free_sgpr 18
		.amdhsa_reserve_vcc 1
		.amdhsa_reserve_flat_scratch 0
		.amdhsa_float_round_mode_32 0
		.amdhsa_float_round_mode_16_64 0
		.amdhsa_float_denorm_mode_32 3
		.amdhsa_float_denorm_mode_16_64 3
		.amdhsa_dx10_clamp 1
		.amdhsa_ieee_mode 1
		.amdhsa_fp16_overflow 0
		.amdhsa_exception_fp_ieee_invalid_op 0
		.amdhsa_exception_fp_denorm_src 0
		.amdhsa_exception_fp_ieee_div_zero 0
		.amdhsa_exception_fp_ieee_overflow 0
		.amdhsa_exception_fp_ieee_underflow 0
		.amdhsa_exception_fp_ieee_inexact 0
		.amdhsa_exception_int_div_zero 0
	.end_amdhsa_kernel
	.text
.Lfunc_end0:
	.size	bluestein_single_back_len432_dim1_sp_op_CI_CI, .Lfunc_end0-bluestein_single_back_len432_dim1_sp_op_CI_CI
                                        ; -- End function
	.section	.AMDGPU.csdata,"",@progbits
; Kernel info:
; codeLenInByte = 13132
; NumSgprs: 22
; NumVgprs: 205
; ScratchSize: 0
; MemoryBound: 0
; FloatMode: 240
; IeeeMode: 1
; LDSByteSize: 6912 bytes/workgroup (compile time only)
; SGPRBlocks: 2
; VGPRBlocks: 51
; NumSGPRsForWavesPerEU: 22
; NumVGPRsForWavesPerEU: 205
; Occupancy: 1
; WaveLimiterHint : 1
; COMPUTE_PGM_RSRC2:SCRATCH_EN: 0
; COMPUTE_PGM_RSRC2:USER_SGPR: 6
; COMPUTE_PGM_RSRC2:TRAP_HANDLER: 0
; COMPUTE_PGM_RSRC2:TGID_X_EN: 1
; COMPUTE_PGM_RSRC2:TGID_Y_EN: 0
; COMPUTE_PGM_RSRC2:TGID_Z_EN: 0
; COMPUTE_PGM_RSRC2:TIDIG_COMP_CNT: 0
	.type	__hip_cuid_240792f62bcfc646,@object ; @__hip_cuid_240792f62bcfc646
	.section	.bss,"aw",@nobits
	.globl	__hip_cuid_240792f62bcfc646
__hip_cuid_240792f62bcfc646:
	.byte	0                               ; 0x0
	.size	__hip_cuid_240792f62bcfc646, 1

	.ident	"AMD clang version 19.0.0git (https://github.com/RadeonOpenCompute/llvm-project roc-6.4.0 25133 c7fe45cf4b819c5991fe208aaa96edf142730f1d)"
	.section	".note.GNU-stack","",@progbits
	.addrsig
	.addrsig_sym __hip_cuid_240792f62bcfc646
	.amdgpu_metadata
---
amdhsa.kernels:
  - .args:
      - .actual_access:  read_only
        .address_space:  global
        .offset:         0
        .size:           8
        .value_kind:     global_buffer
      - .actual_access:  read_only
        .address_space:  global
        .offset:         8
        .size:           8
        .value_kind:     global_buffer
      - .actual_access:  read_only
        .address_space:  global
        .offset:         16
        .size:           8
        .value_kind:     global_buffer
      - .actual_access:  read_only
        .address_space:  global
        .offset:         24
        .size:           8
        .value_kind:     global_buffer
      - .actual_access:  read_only
        .address_space:  global
        .offset:         32
        .size:           8
        .value_kind:     global_buffer
      - .offset:         40
        .size:           8
        .value_kind:     by_value
      - .address_space:  global
        .offset:         48
        .size:           8
        .value_kind:     global_buffer
      - .address_space:  global
        .offset:         56
        .size:           8
        .value_kind:     global_buffer
      - .address_space:  global
        .offset:         64
        .size:           8
        .value_kind:     global_buffer
      - .address_space:  global
        .offset:         72
        .size:           8
        .value_kind:     global_buffer
      - .offset:         80
        .size:           4
        .value_kind:     by_value
      - .address_space:  global
        .offset:         88
        .size:           8
        .value_kind:     global_buffer
      - .address_space:  global
        .offset:         96
        .size:           8
        .value_kind:     global_buffer
    .group_segment_fixed_size: 6912
    .kernarg_segment_align: 8
    .kernarg_segment_size: 104
    .language:       OpenCL C
    .language_version:
      - 2
      - 0
    .max_flat_workgroup_size: 54
    .name:           bluestein_single_back_len432_dim1_sp_op_CI_CI
    .private_segment_fixed_size: 0
    .sgpr_count:     22
    .sgpr_spill_count: 0
    .symbol:         bluestein_single_back_len432_dim1_sp_op_CI_CI.kd
    .uniform_work_group_size: 1
    .uses_dynamic_stack: false
    .vgpr_count:     205
    .vgpr_spill_count: 0
    .wavefront_size: 64
amdhsa.target:   amdgcn-amd-amdhsa--gfx906
amdhsa.version:
  - 1
  - 2
...

	.end_amdgpu_metadata
